;; amdgpu-corpus repo=ROCm/aiter kind=harvested arch=n/a opt=n/a

/root/src/amdgpu-assembly/repos/ROCm__aiter/hsa/gfx942/pa_a16w8_b16_2tg_g8_i8.co:	file format elf64-amdgpu

Disassembly of section .text:

0000000000001a00 <pa_a16w8_2tg_g8_i8>:
	s_and_b32 s1, s1, 0xffff                                   // 000000001A00: 8601FF01 0000FFFF
	s_load_dwordx2 s[8:9], s[0:1], 0x0                         // 000000001A08: C0060200 00000000
	s_load_dwordx2 s[12:13], s[0:1], 0x10                      // 000000001A10: C0060300 00000010
	s_load_dwordx2 s[16:17], s[0:1], 0x20                      // 000000001A18: C0060400 00000020
	s_load_dwordx2 s[20:21], s[0:1], 0x30                      // 000000001A20: C0060500 00000030
	s_load_dwordx2 s[24:25], s[0:1], 0x40                      // 000000001A28: C0060600 00000040
	s_load_dwordx2 s[28:29], s[0:1], 0x50                      // 000000001A30: C0060700 00000050
	s_load_dwordx2 s[32:33], s[0:1], 0x60                      // 000000001A38: C0060800 00000060
	s_load_dwordx2 s[36:37], s[0:1], 0x70                      // 000000001A40: C0060900 00000070
	s_load_dword s64, s[0:1], 0x80                             // 000000001A48: C0021000 00000080
	s_load_dword s65, s[0:1], 0x90                             // 000000001A50: C0021040 00000090
	s_load_dword s66, s[0:1], 0xa0                             // 000000001A58: C0021080 000000A0
	s_load_dword s74, s[0:1], 0xb0                             // 000000001A60: C0021280 000000B0
	s_load_dword s68, s[0:1], 0xc0                             // 000000001A68: C0021100 000000C0
	s_load_dword s69, s[0:1], 0xd0                             // 000000001A70: C0021140 000000D0
	s_load_dword s77, s[0:1], 0xe0                             // 000000001A78: C0021340 000000E0
	v_lshrrev_b32_e32 v1, 10, v0                               // 000000001A80: 2002008A
	v_lshrrev_b32_e32 v2, 10, v1                               // 000000001A84: 2004028A
	v_and_b32_e32 v2, 0x3ff, v2                                // 000000001A88: 260404FF 000003FF
	v_and_b32_e32 v1, 0x3ff, v1                                // 000000001A90: 260202FF 000003FF
	v_and_b32_e32 v0, 0x3ff, v0                                // 000000001A98: 260000FF 000003FF
	v_lshrrev_b32_e32 v3, 6, v0                                // 000000001AA0: 20060086
	v_and_b32_e32 v0, 63, v0                                   // 000000001AA4: 260000BF
	s_mov_b32 s2, s2                                           // 000000001AA8: BE820002
	s_mov_b32 s3, s3                                           // 000000001AAC: BE830003
	s_mov_b32 s4, s4                                           // 000000001AB0: BE840004
	v_readfirstlane_b32 s7, v3                                 // 000000001AB4: 7E0E0503
	s_waitcnt lgkmcnt(0)                                       // 000000001AB8: BF8CC07F
	s_mul_i32 s67, 0x100, s77                                  // 000000001ABC: 92434DFF 00000100
	s_mul_i32 s76, 0x100, s77                                  // 000000001AC4: 924C4DFF 00000100
	s_mul_i32 s75, s66, s76                                    // 000000001ACC: 924B4C42
	s_mul_i32 s60, s3, 4                                       // 000000001AD0: 923C8403
	s_and_b32 s29, s29, 0xffff                                 // 000000001AD4: 861DFF1D 0000FFFF
	s_add_u32 s28, s60, s28                                    // 000000001ADC: 801C1C3C
	s_addc_u32 s29, 0, s29                                     // 000000001AE0: 821D1D80
	s_load_dword s72, s[28:29], 0x0                            // 000000001AE4: C002120E 00000000
	s_mov_b32 s10, s76                                         // 000000001AEC: BE8A004C
	s_mov_b32 s14, s67                                         // 000000001AF0: BE8E0043
	s_mul_i32 s60, 4, s65                                      // 000000001AF4: 923C4184
	s_mov_b32 s26, s60                                         // 000000001AF8: BE9A003C
	s_mov_b32 s34, 0x80000000                                  // 000000001AFC: BEA200FF 80000000
	s_mov_b32 s38, 0x80000000                                  // 000000001B04: BEA600FF 80000000
	s_mov_b32 s18, 0x80000000                                  // 000000001B0C: BE9200FF 80000000
	s_mov_b32 s22, 0x80000000                                  // 000000001B14: BE9600FF 80000000
	s_mov_b32 s11, 0x20000                                     // 000000001B1C: BE8B00FF 00020000
	s_mov_b32 s15, 0x20000                                     // 000000001B24: BE8F00FF 00020000
	s_mov_b32 s19, 0x20000                                     // 000000001B2C: BE9300FF 00020000
	s_mov_b32 s23, 0x20000                                     // 000000001B34: BE9700FF 00020000
	s_mov_b32 s27, 0x20000                                     // 000000001B3C: BE9B00FF 00020000
	s_mov_b32 s35, 0x20000                                     // 000000001B44: BEA300FF 00020000
	s_mov_b32 s39, 0x20000                                     // 000000001B4C: BEA700FF 00020000
	s_and_b32 s9, s9, 0xffff                                   // 000000001B54: 8609FF09 0000FFFF
	s_and_b32 s13, s13, 0xffff                                 // 000000001B5C: 860DFF0D 0000FFFF
	s_and_b32 s17, s17, 0xffff                                 // 000000001B64: 8611FF11 0000FFFF
	s_and_b32 s21, s21, 0xffff                                 // 000000001B6C: 8615FF15 0000FFFF
	s_and_b32 s25, s25, 0xffff                                 // 000000001B74: 8619FF19 0000FFFF
	s_and_b32 s33, s33, 0xffff                                 // 000000001B7C: 8621FF21 0000FFFF
	s_and_b32 s37, s37, 0xffff                                 // 000000001B84: 8625FF25 0000FFFF
	s_or_b32 s9, s9, 0x40000                                   // 000000001B8C: 8709FF09 00040000
	s_or_b32 s13, s13, 0x40000                                 // 000000001B94: 870DFF0D 00040000
	s_or_b32 s17, s17, 0x40000                                 // 000000001B9C: 8711FF11 00040000
	s_or_b32 s21, s21, 0x40000                                 // 000000001BA4: 8715FF15 00040000
	s_or_b32 s25, s25, 0x40000                                 // 000000001BAC: 8719FF19 00040000
	s_or_b32 s33, s33, 0x40000                                 // 000000001BB4: 8721FF21 00040000
	s_or_b32 s37, s37, 0x40000                                 // 000000001BBC: 8725FF25 00040000
	v_accvgpr_write_b32 a127, 0                                // 000000001BC4: D3D9407F 18000080
	v_mov_b32_e32 v127, 0                                      // 000000001BCC: 7EFE0280
	s_mul_i32 s60, s3, s65                                     // 000000001BD0: 923C4103
	s_mul_i32 s60, s60, 4                                      // 000000001BD4: 923C843C
	s_add_u32 s24, s60, s24                                    // 000000001BD8: 8018183C
	s_addc_u32 s25, 0, s25                                     // 000000001BDC: 82191980
	s_mov_b32 s56, 64                                          // 000000001BE0: BEB800C0
	s_waitcnt lgkmcnt(0)                                       // 000000001BE4: BF8CC07F
	s_add_u32 s73, s72, 15                                     // 000000001BE8: 80498F48
	s_lshr_b32 s73, s73, 4                                     // 000000001BEC: 8F498449
	s_mul_i32 s60, s73, 4                                      // 000000001BF0: 923C8449
	s_mov_b32 s26, s60                                         // 000000001BF4: BE9A003C
	v_and_b32_e32 v39, 3, v0                                   // 000000001BF8: 264E0083
	v_cmp_eq_u32_e64 s[60:61], 0, v39                          // 000000001BFC: D0CA003C 00024E80
	v_and_b32_e32 v38, 12, v0                                  // 000000001C04: 264C008C
	v_add_u32_e32 v1, s7, v38                                  // 000000001C08: 68024C07
	v_cndmask_b32_e64 v1, 0, v1, s[60:61]                      // 000000001C0C: D1000001 00F20280
	v_and_b32_e32 v39, 3, v0                                   // 000000001C14: 264E0083
	v_cmp_eq_u32_e64 s[60:61], 1, v39                          // 000000001C18: D0CA003C 00024E81
	v_lshrrev_b32_e32 v38, 4, v0                               // 000000001C20: 204C0084
	v_and_b32_e32 v39, 12, v0                                  // 000000001C24: 264E008C
	v_add_u32_e32 v38, v39, v38                                // 000000001C28: 684C4D27
	v_cndmask_b32_e64 v38, 0, v38, s[60:61]                    // 000000001C2C: D1000026 00F24C80
	v_add_u32_e32 v1, v1, v38                                  // 000000001C34: 68024D01
	v_lshlrev_b32_e32 v1, 2, v1                                // 000000001C38: 24020282
	buffer_load_dword v16, v1, s[24:27], 0 offen               // 000000001C3C: E0501000 80061001
	v_add_u32_e32 v1, s56, v1                                  // 000000001C44: 68020238
	buffer_load_dword v17, v1, s[24:27], 0 offen               // 000000001C48: E0501000 80061101
	s_cmp_le_u32 s73, 32                                       // 000000001C50: BF0BA049
	s_cselect_b32 s56, 0, s56                                  // 000000001C54: 85383880
	s_mul_i32 s60, s2, s67                                     // 000000001C58: 923C4302
	s_mul_i32 s61, s3, s74                                     // 000000001C5C: 923D4A03
	s_add_u32 s60, s60, s61                                    // 000000001C60: 803C3D3C
	s_add_u32 s12, s60, s12                                    // 000000001C64: 800C0C3C
	s_addc_u32 s13, 0, s13                                     // 000000001C68: 820D0D80
	s_mul_i32 s60, s7, 0x108                                   // 000000001C6C: 923CFF07 00000108
	s_add_u32 m0, 0, s60                                       // 000000001C74: 807C3C80
	s_mul_i32 s60, s7, 0x100                                   // 000000001C78: 923CFF07 00000100
	v_lshlrev_b32_e32 v38, 2, v0                               // 000000001C80: 244C0082
	v_add_u32_e64 v38, v38, s60                                // 000000001C84: D1340026 00007926
	buffer_load_dword v38, s[12:15], 0 offen lds               // 000000001C8C: E0511000 80030026
	s_mul_i32 s60, 4, 0x108                                    // 000000001C94: 923CFF84 00000108
	s_add_u32 m0, m0, s60                                      // 000000001C9C: 807C3C7C
	v_add_u32_e32 v38, 0x400, v38                              // 000000001CA0: 684C4CFF 00000400
	buffer_load_dword v38, s[12:15], 0 offen lds               // 000000001CA8: E0511000 80030026
	s_mul_i32 s60, 4, 0x108                                    // 000000001CB0: 923CFF84 00000108
	s_add_u32 m0, m0, s60                                      // 000000001CB8: 807C3C7C
	v_add_u32_e32 v38, 0x400, v38                              // 000000001CBC: 684C4CFF 00000400
	s_mul_i32 s60, s7, 0x108                                   // 000000001CC4: 923CFF07 00000108
	v_lshlrev_b32_e32 v38, 2, v0                               // 000000001CCC: 244C0082
	v_add_u32_e64 v38, v38, s60                                // 000000001CD0: D1340026 00007926
	v_mov_b32_e32 v39, 0                                       // 000000001CD8: 7E4E0280
	ds_write_b32 v38, v39 offset:2112                          // 000000001CDC: D81A0840 00002726
	ds_write_b32 v38, v39 offset:3168                          // 000000001CE4: D81A0C60 00002726
	v_lshrrev_b32_e32 v38, 4, v0                               // 000000001CEC: 204C0084
	v_lshlrev_b32_e32 v38, 2, v38                              // 000000001CF0: 244C4C82
	v_and_b32_e32 v39, 3, v0                                   // 000000001CF4: 264E0083
	v_add_u32_e32 v38, v39, v38                                // 000000001CF8: 684C4D27
	v_lshlrev_b32_e32 v57, 2, v38                              // 000000001CFC: 24724C82
	v_mov_b32_e32 v58, v57                                     // 000000001D00: 7E740339
	s_mul_i32 s60, s2, 64                                      // 000000001D04: 923CC002
	s_add_u32 s32, s60, s32                                    // 000000001D08: 8020203C
	s_addc_u32 s33, 0, s33                                     // 000000001D0C: 82212180
	s_add_u32 s36, s60, s36                                    // 000000001D10: 8024243C
	s_addc_u32 s37, 0, s37                                     // 000000001D14: 82252580
	s_mul_i32 s60, s2, s76                                     // 000000001D18: 923C4C02
	s_mul_i32 s61, s3, s75                                     // 000000001D1C: 923D4B03
	s_add_u32 s60, s60, s61                                    // 000000001D20: 803C3D3C
	s_add_u32 s8, s60, s8                                      // 000000001D24: 8008083C
	s_addc_u32 s9, 0, s9                                       // 000000001D28: 82090980
	s_mul_i32 s60, s7, 0x100                                   // 000000001D2C: 923CFF07 00000100
	v_lshlrev_b32_e32 v8, 2, v0                                // 000000001D34: 24100082
	v_add_u32_e64 v8, v8, s60                                  // 000000001D38: D1340008 00007908
	s_mov_b32 s70, 0                                           // 000000001D40: BEC60080
	s_and_b32 s71, s72, 0xffffff00                             // 000000001D44: 8647FF48 FFFFFF00
	s_mov_b32 s42, 0xff00ff00                                  // 000000001D4C: BEAA00FF FF00FF00
	s_mov_b32 s43, 0xff00ff00                                  // 000000001D54: BEAB00FF FF00FF00
	s_mov_b32 s44, 0xf0f0f0f0                                  // 000000001D5C: BEAC00FF F0F0F0F0
	s_mov_b32 s45, 0xf0f0f0f0                                  // 000000001D64: BEAD00FF F0F0F0F0
	v_mul_i32_i24_e64 v61, 64, s66                             // 000000001D6C: D106003D 000084C0
	v_mov_b32_e32 v51, s68                                     // 000000001D74: 7E660244
	v_mov_b32_e32 v9, -1                                       // 000000001D78: 7E1202C1
	s_mov_b32 s52, 0x7060302                                   // 000000001D7C: BEB400FF 07060302
	s_mov_b32 s53, 0x400                                       // 000000001D84: BEB500FF 00000400
	s_mov_b32 s54, 0x40100                                     // 000000001D8C: BEB600FF 00040100
	s_mov_b32 s55, 0x4020100                                   // 000000001D94: BEB700FF 04020100
	v_mov_b32_dpp v9, v9 row_shl:8 row_mask:0xf bank_mask:0xf bound_ctrl:1// 000000001D9C: 7E1202FA FF090809
	s_mov_b32 s6, 0x3fb8aa3b                                   // 000000001DA4: BE8600FF 3FB8AA3B
	v_mov_b32_e32 v14, 0xff800000                              // 000000001DAC: 7E1C02FF FF800000
	v_mov_b32_e32 v52, 0xff800000                              // 000000001DB4: 7E6802FF FF800000
	v_mov_b32_e32 v49, 0                                       // 000000001DBC: 7E620280
	v_mov_b32_e32 v42, 0                                       // 000000001DC0: 7E540280
	v_mov_b32_e32 v47, 0                                       // 000000001DC4: 7E5E0280
	v_mov_b32_e32 v19, 0xffff0000                              // 000000001DC8: 7E2602FF FFFF0000
	v_mov_b32_e32 v20, 0x7fff0000                              // 000000001DD0: 7E2802FF 7FFF0000
	v_mov_b32_e32 v21, 0x7fff                                  // 000000001DD8: 7E2A02FF 00007FFF
	v_add_u32_e32 v1, s56, v1                                  // 000000001DE0: 68020238
	v_and_b32_e32 v10, 15, v0                                  // 000000001DE4: 2614008F
	v_lshlrev_b32_e32 v10, 2, v10                              // 000000001DE8: 24141482
	v_lshlrev_b32_e32 v11, 2, v0                               // 000000001DEC: 24160082
	s_mul_i32 s60, 0x100, s7                                   // 000000001DF0: 923C07FF 00000100
	v_add_u32_e32 v11, s60, v11                                // 000000001DF8: 6816163C
	v_lshrrev_b32_e32 v38, 4, v0                               // 000000001DFC: 204C0084
	v_lshlrev_b32_e32 v39, 6, v38                              // 000000001E00: 244E4C86
	v_and_b32_e32 v38, 15, v0                                  // 000000001E04: 264C008F
	v_lshlrev_b32_e32 v38, 1, v38                              // 000000001E08: 244C4C81
	v_add_u32_e32 v39, v38, v39                                // 000000001E0C: 684E4F26
	v_lshlrev_b32_e32 v12, 2, v39                              // 000000001E10: 24184E82
	v_lshrrev_b32_e32 v38, 5, v0                               // 000000001E14: 204C0085
	v_lshlrev_b32_e32 v39, 5, v38                              // 000000001E18: 244E4C85
	v_and_b32_e32 v38, 31, v0                                  // 000000001E1C: 264C009F
	v_lshrrev_b32_e32 v40, 4, v38                              // 000000001E20: 20504C84
	v_add_u32_e32 v39, v40, v39                                // 000000001E24: 684E4F28
	v_and_b32_e32 v38, 15, v0                                  // 000000001E28: 264C008F
	v_lshlrev_b32_e32 v38, 1, v38                              // 000000001E2C: 244C4C81
	v_add_u32_e32 v39, v38, v39                                // 000000001E30: 684E4F26
	v_lshlrev_b32_e32 v38, 2, v39                              // 000000001E34: 244C4E82
	s_mul_i32 s60, 0x100, s7                                   // 000000001E38: 923C07FF 00000100
	v_add_u32_e64 v13, v38, s60                                // 000000001E40: D134000D 00007926
	v_lshlrev_b32_e32 v6, 4, v0                                // 000000001E48: 240C0084
	s_mul_i32 s60, s2, s69                                     // 000000001E4C: 923C4502
	s_add_u32 s16, s60, s16                                    // 000000001E50: 8010103C
	s_addc_u32 s17, 0, s17                                     // 000000001E54: 82111180
	v_and_b32_e32 v38, 15, v0                                  // 000000001E58: 264C008F
	v_lshlrev_b32_e32 v7, 4, v38                               // 000000001E5C: 240E4C84
	s_mul_i32 s61, s2, s69                                     // 000000001E60: 923D4502
	s_mul_i32 s60, s7, 0x100                                   // 000000001E64: 923CFF07 00000100
	s_add_u32 s60, s60, s61                                    // 000000001E6C: 803C3D3C
	s_add_u32 s20, s60, s20                                    // 000000001E70: 8014143C
	s_addc_u32 s21, 0, s21                                     // 000000001E74: 82151580
	s_waitcnt vmcnt(2)                                         // 000000001E78: BF8C0F72
	v_mul_u32_u24_dpp v38, v16, v51 row_newbcast:0 row_mask:0xf bank_mask:0xf// 000000001E7C: 104C66FA FF015010
	v_mul_u32_u24_dpp v39, v16, v51 row_newbcast:4 row_mask:0xf bank_mask:0xf// 000000001E84: 104E66FA FF015410
	v_mul_u32_u24_dpp v40, v16, v51 row_newbcast:8 row_mask:0xf bank_mask:0xf// 000000001E8C: 105066FA FF015810
	v_mul_u32_u24_dpp v41, v16, v51 row_newbcast:12 row_mask:0xf bank_mask:0xf// 000000001E94: 105266FA FF015C10
	v_add_u32_e32 v22, v38, v6                                 // 000000001E9C: 682C0D26
	v_add_u32_e32 v23, v39, v6                                 // 000000001EA0: 682E0D27
	v_add_u32_e32 v24, v40, v6                                 // 000000001EA4: 68300D28
	v_add_u32_e32 v25, v41, v6                                 // 000000001EA8: 68320D29
	v_mul_u32_u24_dpp v38, v16, v51 row_newbcast:1 row_mask:0xf bank_mask:0xf// 000000001EAC: 104C66FA FF015110
	v_mul_u32_u24_dpp v39, v16, v51 row_newbcast:5 row_mask:0xf bank_mask:0xf// 000000001EB4: 104E66FA FF015510
	v_mul_u32_u24_dpp v40, v16, v51 row_newbcast:9 row_mask:0xf bank_mask:0xf// 000000001EBC: 105066FA FF015910
	v_mul_u32_u24_dpp v41, v16, v51 row_newbcast:13 row_mask:0xf bank_mask:0xf// 000000001EC4: 105266FA FF015D10
	v_add_u32_e32 v30, v38, v7                                 // 000000001ECC: 683C0F26
	v_add_u32_e32 v31, v39, v7                                 // 000000001ED0: 683E0F27
	v_add_u32_e32 v32, v40, v7                                 // 000000001ED4: 68400F28
	v_add_u32_e32 v33, v41, v7                                 // 000000001ED8: 68420F29
	v_mul_u32_u24_dpp v38, v16, v61 quad_perm:[0,0,0,0] row_mask:0xf bank_mask:0xf// 000000001EDC: 104C7AFA FF000010
	v_add_u32_e32 v2, v38, v57                                 // 000000001EE4: 68047326
	v_mul_u32_u24_dpp v38, v16, v61 quad_perm:[0,0,0,0] row_mask:0xf bank_mask:0xf// 000000001EE8: 104C7AFA FF000010
	v_add_u32_e32 v53, v38, v58                                // 000000001EF0: 686A7526
	buffer_load_dword v44, v2, s[32:35], 0 offen               // 000000001EF4: E0501000 80082C02
	buffer_load_dwordx4 a[0:3], v22, s[16:19], 0 offen         // 000000001EFC: E05C1000 80840016
	buffer_load_dwordx4 a[4:7], v22, s[16:19], 0 offen offset:1024// 000000001F04: E05C1400 80840416
	buffer_load_dwordx4 a[8:11], v23, s[16:19], 0 offen        // 000000001F0C: E05C1000 80840817
	buffer_load_dwordx4 a[12:15], v23, s[16:19], 0 offen offset:1024// 000000001F14: E05C1400 80840C17
	buffer_load_dwordx4 a[16:19], v24, s[16:19], 0 offen       // 000000001F1C: E05C1000 80841018
	buffer_load_dwordx4 a[20:23], v24, s[16:19], 0 offen offset:1024// 000000001F24: E05C1400 80841418
	buffer_load_dwordx4 a[24:27], v25, s[16:19], 0 offen       // 000000001F2C: E05C1000 80841819
	buffer_load_dwordx4 a[28:31], v25, s[16:19], 0 offen offset:1024// 000000001F34: E05C1400 80841C19
	buffer_load_dword v55, v53, s[36:39], 0 offen              // 000000001F3C: E0501000 80093735
	buffer_load_dwordx4 a[64:67], v30, s[20:23], 0 offen       // 000000001F44: E05C1000 8085401E
	buffer_load_dwordx4 a[68:71], v31, s[20:23], 0 offen       // 000000001F4C: E05C1000 8085441F
	buffer_load_dwordx4 a[72:75], v32, s[20:23], 0 offen       // 000000001F54: E05C1000 80854820
	buffer_load_dwordx4 a[76:79], v33, s[20:23], 0 offen       // 000000001F5C: E05C1000 80854C21
	buffer_load_dwordx4 a[80:83], v30, s[20:23], 0 offen offset:1024// 000000001F64: E05C1400 8085501E
	buffer_load_dwordx4 a[84:87], v31, s[20:23], 0 offen offset:1024// 000000001F6C: E05C1400 8085541F
	buffer_load_dwordx4 a[88:91], v32, s[20:23], 0 offen offset:1024// 000000001F74: E05C1400 80855820
	buffer_load_dwordx4 a[92:95], v33, s[20:23], 0 offen offset:1024// 000000001F7C: E05C1400 80855C21
	v_lshrrev_b32_e32 v38, 4, v0                               // 000000001F84: 204C0084
	v_lshlrev_b32_e32 v39, 1, v38                              // 000000001F88: 244E4C81
	v_and_b32_e32 v38, 15, v0                                  // 000000001F8C: 264C008F
	v_mul_i32_i24_e32 v38, 0x42, v38                           // 000000001F90: 0C4C4CFF 00000042
	v_add_u32_e32 v39, v38, v39                                // 000000001F98: 684E4F26
	v_lshlrev_b32_e32 v4, 2, v39                               // 000000001F9C: 24084E82
	s_mul_i32 s60, s7, 32                                      // 000000001FA0: 923CA007
	v_add_u32_e32 v4, s60, v4                                  // 000000001FA4: 6808083C
	s_waitcnt vmcnt(16) lgkmcnt(0)                             // 000000001FA8: BF8C4070
	s_barrier                                                  // 000000001FAC: BF8A0000
	ds_read_b64 v[80:81], v4                                   // 000000001FB0: D8EC0000 50000004
	ds_read_b64 v[84:85], v4 offset:128                        // 000000001FB8: D8EC0080 54000004
	s_waitcnt lgkmcnt(0)                                       // 000000001FC0: BF8CC07F
	v_and_b32_e32 v83, 0xffff0000, v81                         // 000000001FC4: 26A6A2FF FFFF0000
	v_lshlrev_b32_e32 v82, 16, v81                             // 000000001FCC: 24A4A290
	v_and_b32_e32 v81, 0xffff0000, v80                         // 000000001FD0: 26A2A0FF FFFF0000
	v_lshlrev_b32_e32 v80, 16, v80                             // 000000001FD8: 24A0A090
	v_and_b32_e32 v87, 0xffff0000, v85                         // 000000001FDC: 26AEAAFF FFFF0000
	v_lshlrev_b32_e32 v86, 16, v85                             // 000000001FE4: 24ACAA90
	v_and_b32_e32 v85, 0xffff0000, v84                         // 000000001FE8: 26AAA8FF FFFF0000
	v_lshlrev_b32_e32 v84, 16, v84                             // 000000001FF0: 24A8A890
	v_mov_b32_e32 v48, 0x358637bd                              // 000000001FF4: 7E6002FF 358637BD
	v_max3_f32 v48, |v80|, |v81|, v48                          // 000000001FFC: D1D30330 04C2A350
	v_max3_f32 v48, |v82|, |v83|, v48                          // 000000002004: D1D30330 04C2A752
	v_max3_f32 v48, |v84|, |v85|, v48                          // 00000000200C: D1D30330 04C2AB54
	v_max3_f32 v48, |v86|, |v87|, v48                          // 000000002014: D1D30330 04C2AF56
	ds_write_b32 v11, v48 offset:4224                          // 00000000201C: D81A1080 0000300B
	s_waitcnt lgkmcnt(0)                                       // 000000002024: BF8CC07F
	s_barrier                                                  // 000000002028: BF8A0000
	ds_read_b32 v64, v10 offset:4224                           // 00000000202C: D86C1080 4000000A
	ds_read_b32 v65, v10 offset:4288                           // 000000002034: D86C10C0 4100000A
	ds_read_b32 v66, v10 offset:4352                           // 00000000203C: D86C1100 4200000A
	ds_read_b32 v67, v10 offset:4416                           // 000000002044: D86C1140 4300000A
	ds_read_b32 v68, v10 offset:4480                           // 00000000204C: D86C1180 4400000A
	ds_read_b32 v69, v10 offset:4544                           // 000000002054: D86C11C0 4500000A
	ds_read_b32 v70, v10 offset:4608                           // 00000000205C: D86C1200 4600000A
	ds_read_b32 v71, v10 offset:4672                           // 000000002064: D86C1240 4700000A
	ds_read_b32 v72, v10 offset:4736                           // 00000000206C: D86C1280 4800000A
	ds_read_b32 v73, v10 offset:4800                           // 000000002074: D86C12C0 4900000A
	ds_read_b32 v74, v10 offset:4864                           // 00000000207C: D86C1300 4A00000A
	ds_read_b32 v75, v10 offset:4928                           // 000000002084: D86C1340 4B00000A
	ds_read_b32 v76, v10 offset:4992                           // 00000000208C: D86C1380 4C00000A
	ds_read_b32 v77, v10 offset:5056                           // 000000002094: D86C13C0 4D00000A
	ds_read_b32 v78, v10 offset:5120                           // 00000000209C: D86C1400 4E00000A
	ds_read_b32 v79, v10 offset:5184                           // 0000000020A4: D86C1440 4F00000A
	s_waitcnt lgkmcnt(0)                                       // 0000000020AC: BF8CC07F
	v_max3_f32 v48, |v64|, |v65|, v48                          // 0000000020B0: D1D30330 04C28340
	v_max3_f32 v48, |v66|, |v67|, v48                          // 0000000020B8: D1D30330 04C28742
	v_max3_f32 v48, |v68|, |v69|, v48                          // 0000000020C0: D1D30330 04C28B44
	v_max3_f32 v48, |v70|, |v71|, v48                          // 0000000020C8: D1D30330 04C28F46
	v_max3_f32 v48, |v72|, |v73|, v48                          // 0000000020D0: D1D30330 04C29348
	v_max3_f32 v48, |v74|, |v75|, v48                          // 0000000020D8: D1D30330 04C2974A
	v_max3_f32 v48, |v76|, |v77|, v48                          // 0000000020E0: D1D30330 04C29B4C
	v_max3_f32 v48, |v78|, |v79|, v48                          // 0000000020E8: D1D30330 04C29F4E
	v_rcp_f32_e32 v48, v48                                     // 0000000020F0: 7E604530
	s_nop 1                                                    // 0000000020F4: BF800001
	v_mul_f32_e32 v48, 0x42fe0000, v48                         // 0000000020F8: 0A6060FF 42FE0000
	v_mul_f32_e32 v80, v48, v80                                // 000000002100: 0AA0A130
	v_mul_f32_e32 v81, v48, v81                                // 000000002104: 0AA2A330
	v_mul_f32_e32 v82, v48, v82                                // 000000002108: 0AA4A530
	v_mul_f32_e32 v83, v48, v83                                // 00000000210C: 0AA6A730
	v_mul_f32_e32 v84, v48, v84                                // 000000002110: 0AA8A930
	v_mul_f32_e32 v85, v48, v85                                // 000000002114: 0AAAAB30
	v_mul_f32_e32 v86, v48, v86                                // 000000002118: 0AACAD30
	v_mul_f32_e32 v87, v48, v87                                // 00000000211C: 0AAEAF30
	v_cvt_i32_f32_e32 v80, v80                                 // 000000002120: 7EA01150
	v_cvt_i32_f32_e32 v81, v81                                 // 000000002124: 7EA21151
	v_cvt_i32_f32_e32 v82, v82                                 // 000000002128: 7EA41152
	v_cvt_i32_f32_e32 v83, v83                                 // 00000000212C: 7EA61153
	v_cvt_i32_f32_e32 v84, v84                                 // 000000002130: 7EA81154
	v_cvt_i32_f32_e32 v85, v85                                 // 000000002134: 7EAA1155
	v_cvt_i32_f32_e32 v86, v86                                 // 000000002138: 7EAC1156
	v_cvt_i32_f32_e32 v87, v87                                 // 00000000213C: 7EAE1157
	v_rcp_f32_e32 v46, v48                                     // 000000002140: 7E5C4530
	v_perm_b32 v80, v81, v80, s53                              // 000000002144: D1ED0050 00D6A151
	v_perm_b32 v80, v82, v80, s54                              // 00000000214C: D1ED0050 00DAA152
	v_perm_b32 v80, v83, v80, s55                              // 000000002154: D1ED0050 00DEA153
	v_perm_b32 v81, v85, v84, s53                              // 00000000215C: D1ED0051 00D6A955
	v_perm_b32 v81, v86, v81, s54                              // 000000002164: D1ED0051 00DAA356
	v_perm_b32 v81, v87, v81, s55                              // 00000000216C: D1ED0051 00DEA357
	ds_write_b32 v13, v80 offset:6272                          // 000000002174: D81A1880 0000500D
	ds_write_b32 v13, v81 offset:7296                          // 00000000217C: D81A1C80 0000510D
	s_waitcnt lgkmcnt(0)                                       // 000000002184: BF8CC07F
	s_barrier                                                  // 000000002188: BF8A0000
	v_and_b32_e32 v46, v9, v46                                 // 00000000218C: 265C5D09
	ds_read_b64 v[80:81], v12 offset:6272                      // 000000002190: D8EC1880 5000000C
	ds_read_b64 v[82:83], v12 offset:6400                      // 000000002198: D8EC1900 5200000C
	ds_read_b64 v[84:85], v12 offset:7296                      // 0000000021A0: D8EC1C80 5400000C
	ds_read_b64 v[86:87], v12 offset:7424                      // 0000000021A8: D8EC1D00 5600000C
	v_mov_b32_e32 v112, 0                                      // 0000000021B0: 7EE00280
	v_mov_b32_e32 v113, 0                                      // 0000000021B4: 7EE20280
	v_mov_b32_e32 v114, 0                                      // 0000000021B8: 7EE40280
	v_mov_b32_e32 v115, 0                                      // 0000000021BC: 7EE60280
	v_mov_b32_e32 v104, 0                                      // 0000000021C0: 7ED00280
	v_mov_b32_e32 v105, 0                                      // 0000000021C4: 7ED20280
	v_mov_b32_e32 v106, 0                                      // 0000000021C8: 7ED40280
	v_mov_b32_e32 v107, 0                                      // 0000000021CC: 7ED60280
	v_mov_b32_e32 v108, 0                                      // 0000000021D0: 7ED80280
	v_mov_b32_e32 v109, 0                                      // 0000000021D4: 7EDA0280
	v_mov_b32_e32 v110, 0                                      // 0000000021D8: 7EDC0280
	v_mov_b32_e32 v111, 0                                      // 0000000021DC: 7EDE0280
	v_or_b32_dpp v46, v46, v46 row_shr:8 row_mask:0xf bank_mask:0xf bound_ctrl:1// 0000000021E0: 285C5CFA FF09182E
	s_waitcnt vmcnt(8) lgkmcnt(0)                              // 0000000021E8: BF8C0078
	s_barrier                                                  // 0000000021EC: BF8A0000
	s_cmp_lt_u32 s73, 16                                       // 0000000021F0: BF0A9049
	s_cbranch_scc1 label_09CD                                  // 0000000021F4: BF8507CF
	s_cmp_lt_i32 s7, 2                                         // 0000000021F8: BF048207
	s_cbranch_scc0 label_05E8                                  // 0000000021FC: BF8403E8

0000000000002200 <label_0200>:
	s_waitcnt vmcnt(8) lgkmcnt(0)                              // 000000002200: BF8C0078
	v_mul_u32_u24_dpp v38, v17, v51 row_newbcast:0 row_mask:0xf bank_mask:0xf// 000000002204: 104C66FA FF015011
	v_mul_u32_u24_dpp v39, v17, v51 row_newbcast:4 row_mask:0xf bank_mask:0xf// 00000000220C: 104E66FA FF015411
	v_mul_u32_u24_dpp v40, v17, v51 row_newbcast:8 row_mask:0xf bank_mask:0xf// 000000002214: 105066FA FF015811
	v_mul_u32_u24_dpp v41, v17, v51 row_newbcast:12 row_mask:0xf bank_mask:0xf// 00000000221C: 105266FA FF015C11
	v_add_u32_e32 v26, v38, v6                                 // 000000002224: 68340D26
	v_add_u32_e32 v27, v39, v6                                 // 000000002228: 68360D27
	v_add_u32_e32 v28, v40, v6                                 // 00000000222C: 68380D28
	v_add_u32_e32 v29, v41, v6                                 // 000000002230: 683A0D29
	v_mul_u32_u24_dpp v38, v17, v61 quad_perm:[0,0,0,0] row_mask:0xf bank_mask:0xf// 000000002234: 104C7AFA FF000011
	v_add_u32_e32 v3, v38, v57                                 // 00000000223C: 68067326
	v_mul_u32_u24_dpp v38, v17, v61 quad_perm:[0,0,0,0] row_mask:0xf bank_mask:0xf// 000000002240: 104C7AFA FF000011
	v_add_u32_e32 v54, v38, v58                                // 000000002248: 686C7526
	v_mfma_i32_16x16x32_i8 v[88:91], a[0:1], v[80:81], 0       // 00000000224C: D3D70058 0A02A100
	v_mfma_i32_16x16x32_i8 v[88:91], a[2:3], v[82:83], v[88:91]// 000000002254: D3D70058 0D62A502
	buffer_load_dwordx4 a[32:35], v26, s[16:19], 0 offen       // 00000000225C: E05C1000 8084201A
	v_mfma_i32_16x16x32_i8 v[88:91], a[4:5], v[84:85], v[88:91]// 000000002264: D3D70058 0D62A904
	v_mfma_i32_16x16x32_i8 v[88:91], a[6:7], v[86:87], v[88:91]// 00000000226C: D3D70058 0D62AD06
	buffer_load_dword v16, v1, s[24:27], 0 offen               // 000000002274: E0501000 80061001
	v_mfma_i32_16x16x32_i8 v[92:95], a[8:9], v[80:81], 0       // 00000000227C: D3D7005C 0A02A108
	v_mfma_i32_16x16x32_i8 v[92:95], a[10:11], v[82:83], v[92:95]// 000000002284: D3D7005C 0D72A50A
	buffer_load_dwordx4 a[36:39], v26, s[16:19], 0 offen offset:1024// 00000000228C: E05C1400 8084241A
	v_mfma_i32_16x16x32_i8 v[92:95], a[12:13], v[84:85], v[92:95]// 000000002294: D3D7005C 0D72A90C
	v_mfma_i32_16x16x32_i8 v[92:95], a[14:15], v[86:87], v[92:95]// 00000000229C: D3D7005C 0D72AD0E
	v_mfma_i32_16x16x32_i8 v[96:99], a[16:17], v[80:81], 0     // 0000000022A4: D3D70060 0A02A110
	v_mfma_i32_16x16x32_i8 v[96:99], a[18:19], v[82:83], v[96:99]// 0000000022AC: D3D70060 0D82A512
	buffer_load_dwordx4 a[40:43], v27, s[16:19], 0 offen       // 0000000022B4: E05C1000 8084281B
	v_mfma_i32_16x16x32_i8 v[96:99], a[20:21], v[84:85], v[96:99]// 0000000022BC: D3D70060 0D82A914
	v_mfma_i32_16x16x32_i8 v[96:99], a[22:23], v[86:87], v[96:99]// 0000000022C4: D3D70060 0D82AD16
	v_mfma_i32_16x16x32_i8 v[100:103], a[24:25], v[80:81], 0   // 0000000022CC: D3D70064 0A02A118
	v_mfma_i32_16x16x32_i8 v[100:103], a[26:27], v[82:83], v[100:103]// 0000000022D4: D3D70064 0D92A51A
	buffer_load_dwordx4 a[44:47], v27, s[16:19], 0 offen offset:1024// 0000000022DC: E05C1400 80842C1B
	v_mfma_i32_16x16x32_i8 v[100:103], a[28:29], v[84:85], v[100:103]// 0000000022E4: D3D70064 0D92A91C
	v_mfma_i32_16x16x32_i8 v[100:103], a[30:31], v[86:87], v[100:103]// 0000000022EC: D3D70064 0D92AD1E
	buffer_load_dword v45, v3, s[32:35], 0 offen               // 0000000022F4: E0501000 80082D03
	v_mov_b32_dpp v38, v44 row_shr:4 row_mask:0xf bank_mask:0xf// 0000000022FC: 7E4C02FA FF01142C
	v_mov_b32_dpp v39, v44 row_shl:4 row_mask:0xf bank_mask:0xf// 000000002304: 7E4E02FA FF01042C
	v_cndmask_b32_e64 v124, v44, v38, s[44:45]                 // 00000000230C: D100007C 00B24D2C
	v_cndmask_b32_e64 v125, v39, v44, s[44:45]                 // 000000002314: D100007D 00B25927
	v_mov_b32_dpp v38, v55 row_shr:4 row_mask:0xf bank_mask:0xf// 00000000231C: 7E4C02FA FF011437
	v_mov_b32_dpp v39, v55 row_shl:4 row_mask:0xf bank_mask:0xf// 000000002324: 7E4E02FA FF010437
	v_cndmask_b32_e64 v126, v55, v38, s[44:45]                 // 00000000232C: D100007E 00B24D37
	v_cndmask_b32_e64 v127, v39, v55, s[44:45]                 // 000000002334: D100007F 00B26F27
	v_or_b32_dpp v88, v96, v88 row_shr:8 row_mask:0xf bank_mask:0xf bound_ctrl:1// 00000000233C: 28B0B0FA FF091860
	v_or_b32_dpp v89, v97, v89 row_shr:8 row_mask:0xf bank_mask:0xf bound_ctrl:1// 000000002344: 28B2B2FA FF091861
	v_or_b32_dpp v90, v98, v90 row_shr:8 row_mask:0xf bank_mask:0xf bound_ctrl:1// 00000000234C: 28B4B4FA FF091862
	v_or_b32_dpp v91, v99, v91 row_shr:8 row_mask:0xf bank_mask:0xf bound_ctrl:1// 000000002354: 28B6B6FA FF091863
	v_or_b32_dpp v92, v100, v92 row_shr:8 row_mask:0xf bank_mask:0xf bound_ctrl:1// 00000000235C: 28B8B8FA FF091864
	v_or_b32_dpp v93, v101, v93 row_shr:8 row_mask:0xf bank_mask:0xf bound_ctrl:1// 000000002364: 28BABAFA FF091865
	v_or_b32_dpp v94, v102, v94 row_shr:8 row_mask:0xf bank_mask:0xf bound_ctrl:1// 00000000236C: 28BCBCFA FF091866
	v_or_b32_dpp v95, v103, v95 row_shr:8 row_mask:0xf bank_mask:0xf bound_ctrl:1// 000000002374: 28BEBEFA FF091867
	buffer_load_dword v56, v54, s[36:39], 0 offen              // 00000000237C: E0501000 80093836
	v_cvt_f32_i32_e32 v88, v88                                 // 000000002384: 7EB00B58
	v_cvt_f32_i32_e32 v89, v89                                 // 000000002388: 7EB20B59
	v_cvt_f32_i32_e32 v90, v90                                 // 00000000238C: 7EB40B5A
	v_cvt_f32_i32_e32 v91, v91                                 // 000000002390: 7EB60B5B
	v_cvt_f32_i32_e32 v92, v92                                 // 000000002394: 7EB80B5C
	v_cvt_f32_i32_e32 v93, v93                                 // 000000002398: 7EBA0B5D
	v_cvt_f32_i32_e32 v94, v94                                 // 00000000239C: 7EBC0B5E
	v_cvt_f32_i32_e32 v95, v95                                 // 0000000023A0: 7EBE0B5F
	v_mul_f32_e32 v88, v46, v88                                // 0000000023A4: 0AB0B12E
	v_mul_f32_e32 v89, v46, v89                                // 0000000023A8: 0AB2B32E
	v_mul_f32_e32 v90, v46, v90                                // 0000000023AC: 0AB4B52E
	v_mul_f32_e32 v91, v46, v91                                // 0000000023B0: 0AB6B72E
	v_mul_f32_e32 v92, v46, v92                                // 0000000023B4: 0AB8B92E
	v_mul_f32_e32 v93, v46, v93                                // 0000000023B8: 0ABABB2E
	v_mul_f32_e32 v94, v46, v94                                // 0000000023BC: 0ABCBD2E
	v_mul_f32_e32 v95, v46, v95                                // 0000000023C0: 0ABEBF2E
	buffer_load_dwordx4 a[48:51], v28, s[16:19], 0 offen       // 0000000023C4: E05C1000 8084301C
	v_mul_f32_dpp v88, v124, v88 quad_perm:[0,0,0,0] row_mask:0xf bank_mask:0xf// 0000000023CC: 0AB0B0FA FF00007C
	v_mul_f32_dpp v89, v124, v89 quad_perm:[1,1,1,1] row_mask:0xf bank_mask:0xf// 0000000023D4: 0AB2B2FA FF00557C
	v_mul_f32_dpp v90, v124, v90 quad_perm:[2,2,2,2] row_mask:0xf bank_mask:0xf// 0000000023DC: 0AB4B4FA FF00AA7C
	v_mul_f32_dpp v91, v124, v91 quad_perm:[3,3,3,3] row_mask:0xf bank_mask:0xf// 0000000023E4: 0AB6B6FA FF00FF7C
	v_mul_f32_dpp v92, v125, v92 quad_perm:[0,0,0,0] row_mask:0xf bank_mask:0xf// 0000000023EC: 0AB8B8FA FF00007D
	v_mul_f32_dpp v93, v125, v93 quad_perm:[1,1,1,1] row_mask:0xf bank_mask:0xf// 0000000023F4: 0ABABAFA FF00557D
	v_mul_f32_dpp v94, v125, v94 quad_perm:[2,2,2,2] row_mask:0xf bank_mask:0xf// 0000000023FC: 0ABCBCFA FF00AA7D
	v_mul_f32_dpp v95, v125, v95 quad_perm:[3,3,3,3] row_mask:0xf bank_mask:0xf// 000000002404: 0ABEBEFA FF00FF7D
	buffer_load_dwordx4 a[52:55], v28, s[16:19], 0 offen offset:1024// 00000000240C: E05C1400 8084341C
	v_mov_b32_e32 v48, v88                                     // 000000002414: 7E600358
	v_max3_f32 v48, v88, v89, v48                              // 000000002418: D1D30030 04C2B358
	v_max3_f32 v48, v90, v91, v48                              // 000000002420: D1D30030 04C2B75A
	v_max3_f32 v48, v92, v93, v48                              // 000000002428: D1D30030 04C2BB5C
	v_max3_f32 v48, v94, v95, v48                              // 000000002430: D1D30030 04C2BF5E
	ds_write_b32 v11, v48 offset:4224                          // 000000002438: D81A1080 0000300B
	buffer_load_dwordx4 a[56:59], v29, s[16:19], 0 offen       // 000000002440: E05C1000 8084381D
	v_mul_u32_u24_dpp v38, v17, v51 row_newbcast:1 row_mask:0xf bank_mask:0xf// 000000002448: 104C66FA FF015111
	v_mul_u32_u24_dpp v39, v17, v51 row_newbcast:5 row_mask:0xf bank_mask:0xf// 000000002450: 104E66FA FF015511
	v_mul_u32_u24_dpp v40, v17, v51 row_newbcast:9 row_mask:0xf bank_mask:0xf// 000000002458: 105066FA FF015911
	v_mul_u32_u24_dpp v41, v17, v51 row_newbcast:13 row_mask:0xf bank_mask:0xf// 000000002460: 105266FA FF015D11
	v_add_u32_e32 v34, v38, v7                                 // 000000002468: 68440F26
	v_add_u32_e32 v35, v39, v7                                 // 00000000246C: 68460F27
	v_add_u32_e32 v36, v40, v7                                 // 000000002470: 68480F28
	v_add_u32_e32 v37, v41, v7                                 // 000000002474: 684A0F29
	s_waitcnt lgkmcnt(0)                                       // 000000002478: BF8CC07F
	s_barrier                                                  // 00000000247C: BF8A0000
	ds_read_b32 v64, v10 offset:4224                           // 000000002480: D86C1080 4000000A
	ds_read_b32 v65, v10 offset:4288                           // 000000002488: D86C10C0 4100000A
	ds_read_b32 v66, v10 offset:4352                           // 000000002490: D86C1100 4200000A
	ds_read_b32 v67, v10 offset:4416                           // 000000002498: D86C1140 4300000A
	ds_read_b32 v68, v10 offset:4480                           // 0000000024A0: D86C1180 4400000A
	ds_read_b32 v69, v10 offset:4544                           // 0000000024A8: D86C11C0 4500000A
	ds_read_b32 v70, v10 offset:4608                           // 0000000024B0: D86C1200 4600000A
	ds_read_b32 v71, v10 offset:4672                           // 0000000024B8: D86C1240 4700000A
	ds_read_b32 v72, v10 offset:4736                           // 0000000024C0: D86C1280 4800000A
	ds_read_b32 v73, v10 offset:4800                           // 0000000024C8: D86C12C0 4900000A
	ds_read_b32 v74, v10 offset:4864                           // 0000000024D0: D86C1300 4A00000A
	ds_read_b32 v75, v10 offset:4928                           // 0000000024D8: D86C1340 4B00000A
	ds_read_b32 v76, v10 offset:4992                           // 0000000024E0: D86C1380 4C00000A
	ds_read_b32 v77, v10 offset:5056                           // 0000000024E8: D86C13C0 4D00000A
	ds_read_b32 v78, v10 offset:5120                           // 0000000024F0: D86C1400 4E00000A
	ds_read_b32 v79, v10 offset:5184                           // 0000000024F8: D86C1440 4F00000A
	buffer_load_dwordx4 a[60:63], v29, s[16:19], 0 offen offset:1024// 000000002500: E05C1400 80843C1D
	v_mul_f32_e32 v112, v49, v112                              // 000000002508: 0AE0E131
	v_mul_f32_e32 v113, v49, v113                              // 00000000250C: 0AE2E331
	v_mul_f32_e32 v114, v49, v114                              // 000000002510: 0AE4E531
	v_mul_f32_e32 v115, v49, v115                              // 000000002514: 0AE6E731
	v_or_b32_dpp v104, v108, v104 row_shr:8 row_mask:0xf bank_mask:0xf bound_ctrl:1// 000000002518: 28D0D0FA FF09186C
	v_or_b32_dpp v105, v109, v105 row_shr:8 row_mask:0xf bank_mask:0xf bound_ctrl:1// 000000002520: 28D2D2FA FF09186D
	v_or_b32_dpp v106, v110, v106 row_shr:8 row_mask:0xf bank_mask:0xf bound_ctrl:1// 000000002528: 28D4D4FA FF09186E
	v_or_b32_dpp v107, v111, v107 row_shr:8 row_mask:0xf bank_mask:0xf bound_ctrl:1// 000000002530: 28D6D6FA FF09186F
	s_waitcnt lgkmcnt(0)                                       // 000000002538: BF8CC07F
	v_max3_f32 v48, v64, v65, v48                              // 00000000253C: D1D30030 04C28340
	v_max3_f32 v48, v66, v67, v48                              // 000000002544: D1D30030 04C28742
	v_max3_f32 v48, v68, v69, v48                              // 00000000254C: D1D30030 04C28B44
	v_max3_f32 v48, v70, v71, v48                              // 000000002554: D1D30030 04C28F46
	v_max3_f32 v48, v72, v73, v48                              // 00000000255C: D1D30030 04C29348
	v_max3_f32 v48, v74, v75, v48                              // 000000002564: D1D30030 04C2974A
	v_max3_f32 v48, v76, v77, v48                              // 00000000256C: D1D30030 04C29B4C
	v_max3_f32 v48, v78, v79, v48                              // 000000002574: D1D30030 04C29F4E
	buffer_load_dwordx4 a[96:99], v34, s[20:23], 0 offen       // 00000000257C: E05C1000 80856022
	v_cmp_eq_u32_e64 s[40:41], v52, v14                        // 000000002584: D0CA0028 00021D34
	s_nop 1                                                    // 00000000258C: BF800001
	v_mov_b32_dpp v38, v48 row_ror:8 row_mask:0xf bank_mask:0xf// 000000002590: 7E4C02FA FF012830
	v_max_f32_e32 v48, v48, v38                                // 000000002598: 16604D30
	v_max_f32_e32 v15, v48, v14                                // 00000000259C: 161E1D30
	v_mul_f32_e32 v50, s64, v15                                // 0000000025A0: 0A641E40
	v_fma_f32 v88, v88, s64, -v50                              // 0000000025A4: D1CB0058 84C88158
	v_fma_f32 v89, v89, s64, -v50                              // 0000000025AC: D1CB0059 84C88159
	v_fma_f32 v90, v90, s64, -v50                              // 0000000025B4: D1CB005A 84C8815A
	v_fma_f32 v91, v91, s64, -v50                              // 0000000025BC: D1CB005B 84C8815B
	v_fma_f32 v92, v92, s64, -v50                              // 0000000025C4: D1CB005C 84C8815C
	v_fma_f32 v93, v93, s64, -v50                              // 0000000025CC: D1CB005D 84C8815D
	v_fma_f32 v94, v94, s64, -v50                              // 0000000025D4: D1CB005E 84C8815E
	v_fma_f32 v95, v95, s64, -v50                              // 0000000025DC: D1CB005F 84C8815F
	buffer_load_dwordx4 a[100:103], v35, s[20:23], 0 offen     // 0000000025E4: E05C1000 80856423
	v_exp_f32_e32 v88, v88                                     // 0000000025EC: 7EB04158
	v_exp_f32_e32 v89, v89                                     // 0000000025F0: 7EB24159
	v_exp_f32_e32 v90, v90                                     // 0000000025F4: 7EB4415A
	v_exp_f32_e32 v91, v91                                     // 0000000025F8: 7EB6415B
	v_exp_f32_e32 v92, v92                                     // 0000000025FC: 7EB8415C
	v_exp_f32_e32 v93, v93                                     // 000000002600: 7EBA415D
	v_exp_f32_e32 v94, v94                                     // 000000002604: 7EBC415E
	v_exp_f32_e32 v95, v95                                     // 000000002608: 7EBE415F
	buffer_load_dwordx4 a[104:107], v36, s[20:23], 0 offen     // 00000000260C: E05C1000 80856824
	v_mul_f32_dpp v116, v126, v88 quad_perm:[0,0,0,0] row_mask:0xf bank_mask:0xf// 000000002614: 0AE8B0FA FF00007E
	v_mul_f32_dpp v117, v126, v89 quad_perm:[1,1,1,1] row_mask:0xf bank_mask:0xf// 00000000261C: 0AEAB2FA FF00557E
	v_mul_f32_dpp v118, v126, v90 quad_perm:[2,2,2,2] row_mask:0xf bank_mask:0xf// 000000002624: 0AECB4FA FF00AA7E
	v_mul_f32_dpp v119, v126, v91 quad_perm:[3,3,3,3] row_mask:0xf bank_mask:0xf// 00000000262C: 0AEEB6FA FF00FF7E
	v_mul_f32_dpp v120, v127, v92 quad_perm:[0,0,0,0] row_mask:0xf bank_mask:0xf// 000000002634: 0AF0B8FA FF00007F
	v_mul_f32_dpp v121, v127, v93 quad_perm:[1,1,1,1] row_mask:0xf bank_mask:0xf// 00000000263C: 0AF2BAFA FF00557F
	v_mul_f32_dpp v122, v127, v94 quad_perm:[2,2,2,2] row_mask:0xf bank_mask:0xf// 000000002644: 0AF4BCFA FF00AA7F
	v_mul_f32_dpp v123, v127, v95 quad_perm:[3,3,3,3] row_mask:0xf bank_mask:0xf// 00000000264C: 0AF6BEFA FF00FF7F
	v_mov_b32_e32 v48, 0x358637bd                              // 000000002654: 7E6002FF 358637BD
	v_max3_f32 v48, |v116|, |v117|, v48                        // 00000000265C: D1D30330 04C2EB74
	v_max3_f32 v48, |v118|, |v119|, v48                        // 000000002664: D1D30330 04C2EF76
	v_max3_f32 v48, |v120|, |v121|, v48                        // 00000000266C: D1D30330 04C2F378
	v_max3_f32 v48, |v122|, |v123|, v48                        // 000000002674: D1D30330 04C2F77A
	buffer_load_dwordx4 a[108:111], v37, s[20:23], 0 offen     // 00000000267C: E05C1000 80856C25
	ds_write_b32 v11, v48 offset:5248                          // 000000002684: D81A1480 0000300B
	v_sub_f32_e32 v49, v14, v15                                // 00000000268C: 04621F0E
	v_cndmask_b32_e64 v49, v49, 0, s[40:41]                    // 000000002690: D1000031 00A10131
	v_mov_b32_e32 v14, v15                                     // 000000002698: 7E1C030F
	v_mul_f32_e32 v49, s64, v49                                // 00000000269C: 0A626240
	v_exp_f32_e32 v49, v49                                     // 0000000026A0: 7E624131
	s_waitcnt lgkmcnt(0)                                       // 0000000026A4: BF8CC07F
	s_barrier                                                  // 0000000026A8: BF8A0000
	ds_read_b32 v64, v10 offset:5248                           // 0000000026AC: D86C1480 4000000A
	ds_read_b32 v65, v10 offset:5312                           // 0000000026B4: D86C14C0 4100000A
	ds_read_b32 v66, v10 offset:5376                           // 0000000026BC: D86C1500 4200000A
	ds_read_b32 v67, v10 offset:5440                           // 0000000026C4: D86C1540 4300000A
	ds_read_b32 v68, v10 offset:5504                           // 0000000026CC: D86C1580 4400000A
	ds_read_b32 v69, v10 offset:5568                           // 0000000026D4: D86C15C0 4500000A
	ds_read_b32 v70, v10 offset:5632                           // 0000000026DC: D86C1600 4600000A
	ds_read_b32 v71, v10 offset:5696                           // 0000000026E4: D86C1640 4700000A
	ds_read_b32 v72, v10 offset:5760                           // 0000000026EC: D86C1680 4800000A
	ds_read_b32 v73, v10 offset:5824                           // 0000000026F4: D86C16C0 4900000A
	ds_read_b32 v74, v10 offset:5888                           // 0000000026FC: D86C1700 4A00000A
	ds_read_b32 v75, v10 offset:5952                           // 000000002704: D86C1740 4B00000A
	ds_read_b32 v76, v10 offset:6016                           // 00000000270C: D86C1780 4C00000A
	ds_read_b32 v77, v10 offset:6080                           // 000000002714: D86C17C0 4D00000A
	ds_read_b32 v78, v10 offset:6144                           // 00000000271C: D86C1800 4E00000A
	ds_read_b32 v79, v10 offset:6208                           // 000000002724: D86C1840 4F00000A
	v_mul_f32_e32 v42, v49, v42                                // 00000000272C: 0A545531
	v_mov_b32_e32 v43, v88                                     // 000000002730: 7E560358
	v_add_f32_e32 v43, v89, v43                                // 000000002734: 02565759
	v_add_f32_e32 v43, v90, v43                                // 000000002738: 0256575A
	v_add_f32_e32 v43, v91, v43                                // 00000000273C: 0256575B
	v_add_f32_e32 v43, v92, v43                                // 000000002740: 0256575C
	v_add_f32_e32 v43, v93, v43                                // 000000002744: 0256575D
	v_add_f32_e32 v43, v94, v43                                // 000000002748: 0256575E
	v_add_f32_e32 v43, v95, v43                                // 00000000274C: 0256575F
	v_add_f32_e32 v42, v43, v42                                // 000000002750: 0254552B
	s_waitcnt lgkmcnt(0)                                       // 000000002754: BF8CC07F
	v_max3_f32 v48, |v64|, |v65|, v48                          // 000000002758: D1D30330 04C28340
	v_max3_f32 v48, |v66|, |v67|, v48                          // 000000002760: D1D30330 04C28742
	v_max3_f32 v48, |v68|, |v69|, v48                          // 000000002768: D1D30330 04C28B44
	v_max3_f32 v48, |v70|, |v71|, v48                          // 000000002770: D1D30330 04C28F46
	v_max3_f32 v48, |v72|, |v73|, v48                          // 000000002778: D1D30330 04C29348
	v_max3_f32 v48, |v74|, |v75|, v48                          // 000000002780: D1D30330 04C2974A
	v_max3_f32 v48, |v76|, |v77|, v48                          // 000000002788: D1D30330 04C29B4C
	v_max3_f32 v48, |v78|, |v79|, v48                          // 000000002790: D1D30330 04C29F4E
	s_nop 2                                                    // 000000002798: BF800002
	v_mov_b32_dpp v38, v48 row_ror:8 row_mask:0xf bank_mask:0xf// 00000000279C: 7E4C02FA FF012830
	v_max_f32_e32 v48, v48, v38                                // 0000000027A4: 16604D30
	v_rcp_f32_e32 v48, v48                                     // 0000000027A8: 7E604530
	s_nop 1                                                    // 0000000027AC: BF800001
	v_mul_f32_e32 v48, 0x42fe0000, v48                         // 0000000027B0: 0A6060FF 42FE0000
	v_mul_f32_e32 v88, v48, v116                               // 0000000027B8: 0AB0E930
	v_mul_f32_e32 v89, v48, v117                               // 0000000027BC: 0AB2EB30
	v_mul_f32_e32 v90, v48, v118                               // 0000000027C0: 0AB4ED30
	v_mul_f32_e32 v91, v48, v119                               // 0000000027C4: 0AB6EF30
	v_mul_f32_e32 v92, v48, v120                               // 0000000027C8: 0AB8F130
	v_mul_f32_e32 v93, v48, v121                               // 0000000027CC: 0ABAF330
	v_mul_f32_e32 v94, v48, v122                               // 0000000027D0: 0ABCF530
	v_mul_f32_e32 v95, v48, v123                               // 0000000027D4: 0ABEF730
	v_cvt_i32_f32_e32 v88, v88                                 // 0000000027D8: 7EB01158
	v_cvt_i32_f32_e32 v89, v89                                 // 0000000027DC: 7EB21159
	v_cvt_i32_f32_e32 v90, v90                                 // 0000000027E0: 7EB4115A
	v_cvt_i32_f32_e32 v91, v91                                 // 0000000027E4: 7EB6115B
	v_cvt_i32_f32_e32 v92, v92                                 // 0000000027E8: 7EB8115C
	v_cvt_i32_f32_e32 v93, v93                                 // 0000000027EC: 7EBA115D
	v_cvt_i32_f32_e32 v94, v94                                 // 0000000027F0: 7EBC115E
	v_cvt_i32_f32_e32 v95, v95                                 // 0000000027F4: 7EBE115F
	v_perm_b32 v88, v89, v88, s53                              // 0000000027F8: D1ED0058 00D6B159
	v_perm_b32 v88, v90, v88, s54                              // 000000002800: D1ED0058 00DAB15A
	v_perm_b32 v88, v91, v88, s55                              // 000000002808: D1ED0058 00DEB15B
	v_perm_b32 v89, v93, v92, s53                              // 000000002810: D1ED0059 00D6B95D
	v_perm_b32 v89, v94, v89, s54                              // 000000002818: D1ED0059 00DAB35E
	v_perm_b32 v89, v95, v89, s55                              // 000000002820: D1ED0059 00DEB35F
	ds_write_b32 v13, v88 offset:6272                          // 000000002828: D81A1880 0000580D
	ds_write_b32 v13, v89 offset:7296                          // 000000002830: D81A1C80 0000590D
	v_cvt_f32_i32_e32 v104, v104                               // 000000002838: 7ED00B68
	v_cvt_f32_i32_e32 v105, v105                               // 00000000283C: 7ED20B69
	v_cvt_f32_i32_e32 v106, v106                               // 000000002840: 7ED40B6A
	v_cvt_f32_i32_e32 v107, v107                               // 000000002844: 7ED60B6B
	v_mul_f32_e32 v104, v47, v104                              // 000000002848: 0AD0D12F
	v_mul_f32_e32 v105, v47, v105                              // 00000000284C: 0AD2D32F
	v_mul_f32_e32 v106, v47, v106                              // 000000002850: 0AD4D52F
	v_mul_f32_e32 v107, v47, v107                              // 000000002854: 0AD6D72F
	v_rcp_f32_e32 v47, v48                                     // 000000002858: 7E5E4530
	s_waitcnt lgkmcnt(0)                                       // 00000000285C: BF8CC07F
	s_barrier                                                  // 000000002860: BF8A0000
	ds_read_b64 v[88:89], v12 offset:6272                      // 000000002864: D8EC1880 5800000C
	ds_read_b64 v[90:91], v12 offset:6400                      // 00000000286C: D8EC1900 5A00000C
	ds_read_b64 v[92:93], v12 offset:7296                      // 000000002874: D8EC1C80 5C00000C
	ds_read_b64 v[94:95], v12 offset:7424                      // 00000000287C: D8EC1D00 5E00000C
	v_add_f32_e32 v112, v112, v104                             // 000000002884: 02E0D170
	v_add_f32_e32 v113, v113, v105                             // 000000002888: 02E2D371
	v_add_f32_e32 v114, v114, v106                             // 00000000288C: 02E4D572
	v_add_f32_e32 v115, v115, v107                             // 000000002890: 02E6D773
	s_waitcnt lgkmcnt(3)                                       // 000000002894: BF8CC37F
	v_mov_b32_dpp v96, v88 row_shl:8 row_mask:0xf bank_mask:0xf bound_ctrl:1// 000000002898: 7EC002FA FF090858
	v_and_b32_e32 v88, v88, v9                                 // 0000000028A0: 26B01358
	v_mov_b32_dpp v97, v89 row_shl:8 row_mask:0xf bank_mask:0xf bound_ctrl:1// 0000000028A4: 7EC202FA FF090859
	v_and_b32_e32 v89, v89, v9                                 // 0000000028AC: 26B21359
	s_waitcnt lgkmcnt(2)                                       // 0000000028B0: BF8CC27F
	v_mov_b32_dpp v98, v90 row_shl:8 row_mask:0xf bank_mask:0xf bound_ctrl:1// 0000000028B4: 7EC402FA FF09085A
	v_and_b32_e32 v90, v90, v9                                 // 0000000028BC: 26B4135A
	v_mov_b32_dpp v99, v91 row_shl:8 row_mask:0xf bank_mask:0xf bound_ctrl:1// 0000000028C0: 7EC602FA FF09085B
	v_and_b32_e32 v91, v91, v9                                 // 0000000028C8: 26B6135B
	s_waitcnt lgkmcnt(1)                                       // 0000000028CC: BF8CC17F
	v_mov_b32_dpp v100, v92 row_shl:8 row_mask:0xf bank_mask:0xf bound_ctrl:1// 0000000028D0: 7EC802FA FF09085C
	v_and_b32_e32 v92, v92, v9                                 // 0000000028D8: 26B8135C
	v_mov_b32_dpp v101, v93 row_shl:8 row_mask:0xf bank_mask:0xf bound_ctrl:1// 0000000028DC: 7ECA02FA FF09085D
	v_and_b32_e32 v93, v93, v9                                 // 0000000028E4: 26BA135D
	s_waitcnt lgkmcnt(0)                                       // 0000000028E8: BF8CC07F
	v_mov_b32_dpp v102, v94 row_shl:8 row_mask:0xf bank_mask:0xf bound_ctrl:1// 0000000028EC: 7ECC02FA FF09085E
	v_and_b32_e32 v94, v94, v9                                 // 0000000028F4: 26BC135E
	v_mov_b32_dpp v103, v95 row_shl:8 row_mask:0xf bank_mask:0xf bound_ctrl:1// 0000000028F8: 7ECE02FA FF09085F
	v_and_b32_e32 v95, v95, v9                                 // 000000002900: 26BE135F
	s_waitcnt vmcnt(15)                                        // 000000002904: BF8C0F7F
	v_mfma_i32_16x16x32_i8 v[104:107], a[64:65], v[88:89], 0   // 000000002908: D3D70068 0A02B140
	v_mfma_i32_16x16x32_i8 v[104:107], a[66:67], v[90:91], v[104:107]// 000000002910: D3D70068 0DA2B542
	buffer_load_dwordx4 a[112:115], v34, s[20:23], 0 offen offset:1024// 000000002918: E05C1400 80857022
	v_mfma_i32_16x16x32_i8 v[104:107], a[68:69], v[92:93], v[104:107]// 000000002920: D3D70068 0DA2B944
	v_mfma_i32_16x16x32_i8 v[104:107], a[70:71], v[94:95], v[104:107]// 000000002928: D3D70068 0DA2BD46
	v_mfma_i32_16x16x32_i8 v[104:107], a[72:73], v[96:97], v[104:107]// 000000002930: D3D70068 0DA2C148
	v_mfma_i32_16x16x32_i8 v[104:107], a[74:75], v[98:99], v[104:107]// 000000002938: D3D70068 0DA2C54A
	buffer_load_dwordx4 a[116:119], v35, s[20:23], 0 offen offset:1024// 000000002940: E05C1400 80857423
	v_mfma_i32_16x16x32_i8 v[104:107], a[76:77], v[100:101], v[104:107]// 000000002948: D3D70068 0DA2C94C
	v_mfma_i32_16x16x32_i8 v[104:107], a[78:79], v[102:103], v[104:107]// 000000002950: D3D70068 0DA2CD4E
	v_mfma_i32_16x16x32_i8 v[108:111], a[80:81], v[88:89], 0   // 000000002958: D3D7006C 0A02B150
	v_mfma_i32_16x16x32_i8 v[108:111], a[82:83], v[90:91], v[108:111]// 000000002960: D3D7006C 0DB2B552
	buffer_load_dwordx4 a[120:123], v36, s[20:23], 0 offen offset:1024// 000000002968: E05C1400 80857824
	v_mfma_i32_16x16x32_i8 v[108:111], a[84:85], v[92:93], v[108:111]// 000000002970: D3D7006C 0DB2B954
	v_mfma_i32_16x16x32_i8 v[108:111], a[86:87], v[94:95], v[108:111]// 000000002978: D3D7006C 0DB2BD56
	v_mfma_i32_16x16x32_i8 v[108:111], a[88:89], v[96:97], v[108:111]// 000000002980: D3D7006C 0DB2C158
	v_mfma_i32_16x16x32_i8 v[108:111], a[90:91], v[98:99], v[108:111]// 000000002988: D3D7006C 0DB2C55A
	buffer_load_dwordx4 a[124:127], v37, s[20:23], 0 offen offset:1024// 000000002990: E05C1400 80857C25
	v_mfma_i32_16x16x32_i8 v[108:111], a[92:93], v[100:101], v[108:111]// 000000002998: D3D7006C 0DB2C95C
	s_lshr_b32 s57, s70, 4                                     // 0000000029A0: 8F398446
	s_add_u32 s57, 48, s57                                     // 0000000029A4: 803939B0
	v_mfma_i32_16x16x32_i8 v[108:111], a[94:95], v[102:103], v[108:111]// 0000000029A8: D3D7006C 0DB2CD5E
	s_cmp_ge_u32 s57, s73                                      // 0000000029B0: BF094939
	s_cselect_b32 s56, 0, s56                                  // 0000000029B4: 85383880
	v_add_u32_e32 v1, s56, v1                                  // 0000000029B8: 68020238
	s_addk_i32 s70, 0x100                                      // 0000000029BC: B7460100
	s_cmp_lt_i32 s70, s71                                      // 0000000029C0: BF044746
	s_cbranch_scc0 label_05E5                                  // 0000000029C4: BF8401F3
	s_waitcnt vmcnt(8) lgkmcnt(0)                              // 0000000029C8: BF8C0078
	v_mul_u32_u24_dpp v38, v16, v51 row_newbcast:0 row_mask:0xf bank_mask:0xf// 0000000029CC: 104C66FA FF015010
	v_mul_u32_u24_dpp v39, v16, v51 row_newbcast:4 row_mask:0xf bank_mask:0xf// 0000000029D4: 104E66FA FF015410
	v_mul_u32_u24_dpp v40, v16, v51 row_newbcast:8 row_mask:0xf bank_mask:0xf// 0000000029DC: 105066FA FF015810
	v_mul_u32_u24_dpp v41, v16, v51 row_newbcast:12 row_mask:0xf bank_mask:0xf// 0000000029E4: 105266FA FF015C10
	v_add_u32_e32 v22, v38, v6                                 // 0000000029EC: 682C0D26
	v_add_u32_e32 v23, v39, v6                                 // 0000000029F0: 682E0D27
	v_add_u32_e32 v24, v40, v6                                 // 0000000029F4: 68300D28
	v_add_u32_e32 v25, v41, v6                                 // 0000000029F8: 68320D29
	v_mul_u32_u24_dpp v38, v16, v61 quad_perm:[0,0,0,0] row_mask:0xf bank_mask:0xf// 0000000029FC: 104C7AFA FF000010
	v_add_u32_e32 v2, v38, v57                                 // 000000002A04: 68047326
	v_mul_u32_u24_dpp v38, v16, v61 quad_perm:[0,0,0,0] row_mask:0xf bank_mask:0xf// 000000002A08: 104C7AFA FF000010
	v_add_u32_e32 v53, v38, v58                                // 000000002A10: 686A7526
	v_mfma_i32_16x16x32_i8 v[88:91], a[32:33], v[80:81], 0     // 000000002A14: D3D70058 0A02A120
	v_mfma_i32_16x16x32_i8 v[88:91], a[34:35], v[82:83], v[88:91]// 000000002A1C: D3D70058 0D62A522
	buffer_load_dwordx4 a[0:3], v22, s[16:19], 0 offen         // 000000002A24: E05C1000 80840016
	v_mfma_i32_16x16x32_i8 v[88:91], a[36:37], v[84:85], v[88:91]// 000000002A2C: D3D70058 0D62A924
	v_mfma_i32_16x16x32_i8 v[88:91], a[38:39], v[86:87], v[88:91]// 000000002A34: D3D70058 0D62AD26
	buffer_load_dword v17, v1, s[24:27], 0 offen               // 000000002A3C: E0501000 80061101
	v_mfma_i32_16x16x32_i8 v[92:95], a[40:41], v[80:81], 0     // 000000002A44: D3D7005C 0A02A128
	v_mfma_i32_16x16x32_i8 v[92:95], a[42:43], v[82:83], v[92:95]// 000000002A4C: D3D7005C 0D72A52A
	buffer_load_dwordx4 a[4:7], v22, s[16:19], 0 offen offset:1024// 000000002A54: E05C1400 80840416
	v_mfma_i32_16x16x32_i8 v[92:95], a[44:45], v[84:85], v[92:95]// 000000002A5C: D3D7005C 0D72A92C
	v_mfma_i32_16x16x32_i8 v[92:95], a[46:47], v[86:87], v[92:95]// 000000002A64: D3D7005C 0D72AD2E
	v_mfma_i32_16x16x32_i8 v[96:99], a[48:49], v[80:81], 0     // 000000002A6C: D3D70060 0A02A130
	v_mfma_i32_16x16x32_i8 v[96:99], a[50:51], v[82:83], v[96:99]// 000000002A74: D3D70060 0D82A532
	buffer_load_dwordx4 a[8:11], v23, s[16:19], 0 offen        // 000000002A7C: E05C1000 80840817
	v_mfma_i32_16x16x32_i8 v[96:99], a[52:53], v[84:85], v[96:99]// 000000002A84: D3D70060 0D82A934
	v_mfma_i32_16x16x32_i8 v[96:99], a[54:55], v[86:87], v[96:99]// 000000002A8C: D3D70060 0D82AD36
	v_mfma_i32_16x16x32_i8 v[100:103], a[56:57], v[80:81], 0   // 000000002A94: D3D70064 0A02A138
	v_mfma_i32_16x16x32_i8 v[100:103], a[58:59], v[82:83], v[100:103]// 000000002A9C: D3D70064 0D92A53A
	buffer_load_dwordx4 a[12:15], v23, s[16:19], 0 offen offset:1024// 000000002AA4: E05C1400 80840C17
	v_mfma_i32_16x16x32_i8 v[100:103], a[60:61], v[84:85], v[100:103]// 000000002AAC: D3D70064 0D92A93C
	v_mfma_i32_16x16x32_i8 v[100:103], a[62:63], v[86:87], v[100:103]// 000000002AB4: D3D70064 0D92AD3E
	buffer_load_dword v44, v2, s[32:35], 0 offen               // 000000002ABC: E0501000 80082C02
	v_mov_b32_dpp v38, v45 row_shr:4 row_mask:0xf bank_mask:0xf// 000000002AC4: 7E4C02FA FF01142D
	v_mov_b32_dpp v39, v45 row_shl:4 row_mask:0xf bank_mask:0xf// 000000002ACC: 7E4E02FA FF01042D
	v_cndmask_b32_e64 v124, v45, v38, s[44:45]                 // 000000002AD4: D100007C 00B24D2D
	v_cndmask_b32_e64 v125, v39, v45, s[44:45]                 // 000000002ADC: D100007D 00B25B27
	v_mov_b32_dpp v38, v56 row_shr:4 row_mask:0xf bank_mask:0xf// 000000002AE4: 7E4C02FA FF011438
	v_mov_b32_dpp v39, v56 row_shl:4 row_mask:0xf bank_mask:0xf// 000000002AEC: 7E4E02FA FF010438
	v_cndmask_b32_e64 v126, v56, v38, s[44:45]                 // 000000002AF4: D100007E 00B24D38
	v_cndmask_b32_e64 v127, v39, v56, s[44:45]                 // 000000002AFC: D100007F 00B27127
	v_or_b32_dpp v88, v96, v88 row_shr:8 row_mask:0xf bank_mask:0xf bound_ctrl:1// 000000002B04: 28B0B0FA FF091860
	v_or_b32_dpp v89, v97, v89 row_shr:8 row_mask:0xf bank_mask:0xf bound_ctrl:1// 000000002B0C: 28B2B2FA FF091861
	v_or_b32_dpp v90, v98, v90 row_shr:8 row_mask:0xf bank_mask:0xf bound_ctrl:1// 000000002B14: 28B4B4FA FF091862
	v_or_b32_dpp v91, v99, v91 row_shr:8 row_mask:0xf bank_mask:0xf bound_ctrl:1// 000000002B1C: 28B6B6FA FF091863
	v_or_b32_dpp v92, v100, v92 row_shr:8 row_mask:0xf bank_mask:0xf bound_ctrl:1// 000000002B24: 28B8B8FA FF091864
	v_or_b32_dpp v93, v101, v93 row_shr:8 row_mask:0xf bank_mask:0xf bound_ctrl:1// 000000002B2C: 28BABAFA FF091865
	v_or_b32_dpp v94, v102, v94 row_shr:8 row_mask:0xf bank_mask:0xf bound_ctrl:1// 000000002B34: 28BCBCFA FF091866
	v_or_b32_dpp v95, v103, v95 row_shr:8 row_mask:0xf bank_mask:0xf bound_ctrl:1// 000000002B3C: 28BEBEFA FF091867
	buffer_load_dword v55, v53, s[36:39], 0 offen              // 000000002B44: E0501000 80093735
	v_cvt_f32_i32_e32 v88, v88                                 // 000000002B4C: 7EB00B58
	v_cvt_f32_i32_e32 v89, v89                                 // 000000002B50: 7EB20B59
	v_cvt_f32_i32_e32 v90, v90                                 // 000000002B54: 7EB40B5A
	v_cvt_f32_i32_e32 v91, v91                                 // 000000002B58: 7EB60B5B
	v_cvt_f32_i32_e32 v92, v92                                 // 000000002B5C: 7EB80B5C
	v_cvt_f32_i32_e32 v93, v93                                 // 000000002B60: 7EBA0B5D
	v_cvt_f32_i32_e32 v94, v94                                 // 000000002B64: 7EBC0B5E
	v_cvt_f32_i32_e32 v95, v95                                 // 000000002B68: 7EBE0B5F
	v_mul_f32_e32 v88, v46, v88                                // 000000002B6C: 0AB0B12E
	v_mul_f32_e32 v89, v46, v89                                // 000000002B70: 0AB2B32E
	v_mul_f32_e32 v90, v46, v90                                // 000000002B74: 0AB4B52E
	v_mul_f32_e32 v91, v46, v91                                // 000000002B78: 0AB6B72E
	v_mul_f32_e32 v92, v46, v92                                // 000000002B7C: 0AB8B92E
	v_mul_f32_e32 v93, v46, v93                                // 000000002B80: 0ABABB2E
	v_mul_f32_e32 v94, v46, v94                                // 000000002B84: 0ABCBD2E
	v_mul_f32_e32 v95, v46, v95                                // 000000002B88: 0ABEBF2E
	buffer_load_dwordx4 a[16:19], v24, s[16:19], 0 offen       // 000000002B8C: E05C1000 80841018
	v_mul_f32_dpp v88, v124, v88 quad_perm:[0,0,0,0] row_mask:0xf bank_mask:0xf// 000000002B94: 0AB0B0FA FF00007C
	v_mul_f32_dpp v89, v124, v89 quad_perm:[1,1,1,1] row_mask:0xf bank_mask:0xf// 000000002B9C: 0AB2B2FA FF00557C
	v_mul_f32_dpp v90, v124, v90 quad_perm:[2,2,2,2] row_mask:0xf bank_mask:0xf// 000000002BA4: 0AB4B4FA FF00AA7C
	v_mul_f32_dpp v91, v124, v91 quad_perm:[3,3,3,3] row_mask:0xf bank_mask:0xf// 000000002BAC: 0AB6B6FA FF00FF7C
	v_mul_f32_dpp v92, v125, v92 quad_perm:[0,0,0,0] row_mask:0xf bank_mask:0xf// 000000002BB4: 0AB8B8FA FF00007D
	v_mul_f32_dpp v93, v125, v93 quad_perm:[1,1,1,1] row_mask:0xf bank_mask:0xf// 000000002BBC: 0ABABAFA FF00557D
	v_mul_f32_dpp v94, v125, v94 quad_perm:[2,2,2,2] row_mask:0xf bank_mask:0xf// 000000002BC4: 0ABCBCFA FF00AA7D
	v_mul_f32_dpp v95, v125, v95 quad_perm:[3,3,3,3] row_mask:0xf bank_mask:0xf// 000000002BCC: 0ABEBEFA FF00FF7D
	buffer_load_dwordx4 a[20:23], v24, s[16:19], 0 offen offset:1024// 000000002BD4: E05C1400 80841418
	v_mov_b32_e32 v48, v88                                     // 000000002BDC: 7E600358
	v_max3_f32 v48, v88, v89, v48                              // 000000002BE0: D1D30030 04C2B358
	v_max3_f32 v48, v90, v91, v48                              // 000000002BE8: D1D30030 04C2B75A
	v_max3_f32 v48, v92, v93, v48                              // 000000002BF0: D1D30030 04C2BB5C
	v_max3_f32 v48, v94, v95, v48                              // 000000002BF8: D1D30030 04C2BF5E
	ds_write_b32 v11, v48 offset:4224                          // 000000002C00: D81A1080 0000300B
	buffer_load_dwordx4 a[24:27], v25, s[16:19], 0 offen       // 000000002C08: E05C1000 80841819
	v_mul_u32_u24_dpp v38, v16, v51 row_newbcast:1 row_mask:0xf bank_mask:0xf// 000000002C10: 104C66FA FF015110
	v_mul_u32_u24_dpp v39, v16, v51 row_newbcast:5 row_mask:0xf bank_mask:0xf// 000000002C18: 104E66FA FF015510
	v_mul_u32_u24_dpp v40, v16, v51 row_newbcast:9 row_mask:0xf bank_mask:0xf// 000000002C20: 105066FA FF015910
	v_mul_u32_u24_dpp v41, v16, v51 row_newbcast:13 row_mask:0xf bank_mask:0xf// 000000002C28: 105266FA FF015D10
	v_add_u32_e32 v30, v38, v7                                 // 000000002C30: 683C0F26
	v_add_u32_e32 v31, v39, v7                                 // 000000002C34: 683E0F27
	v_add_u32_e32 v32, v40, v7                                 // 000000002C38: 68400F28
	v_add_u32_e32 v33, v41, v7                                 // 000000002C3C: 68420F29
	s_waitcnt lgkmcnt(0)                                       // 000000002C40: BF8CC07F
	s_barrier                                                  // 000000002C44: BF8A0000
	ds_read_b32 v64, v10 offset:4224                           // 000000002C48: D86C1080 4000000A
	ds_read_b32 v65, v10 offset:4288                           // 000000002C50: D86C10C0 4100000A
	ds_read_b32 v66, v10 offset:4352                           // 000000002C58: D86C1100 4200000A
	ds_read_b32 v67, v10 offset:4416                           // 000000002C60: D86C1140 4300000A
	ds_read_b32 v68, v10 offset:4480                           // 000000002C68: D86C1180 4400000A
	ds_read_b32 v69, v10 offset:4544                           // 000000002C70: D86C11C0 4500000A
	ds_read_b32 v70, v10 offset:4608                           // 000000002C78: D86C1200 4600000A
	ds_read_b32 v71, v10 offset:4672                           // 000000002C80: D86C1240 4700000A
	ds_read_b32 v72, v10 offset:4736                           // 000000002C88: D86C1280 4800000A
	ds_read_b32 v73, v10 offset:4800                           // 000000002C90: D86C12C0 4900000A
	ds_read_b32 v74, v10 offset:4864                           // 000000002C98: D86C1300 4A00000A
	ds_read_b32 v75, v10 offset:4928                           // 000000002CA0: D86C1340 4B00000A
	ds_read_b32 v76, v10 offset:4992                           // 000000002CA8: D86C1380 4C00000A
	ds_read_b32 v77, v10 offset:5056                           // 000000002CB0: D86C13C0 4D00000A
	ds_read_b32 v78, v10 offset:5120                           // 000000002CB8: D86C1400 4E00000A
	ds_read_b32 v79, v10 offset:5184                           // 000000002CC0: D86C1440 4F00000A
	buffer_load_dwordx4 a[28:31], v25, s[16:19], 0 offen offset:1024// 000000002CC8: E05C1400 80841C19
	v_mul_f32_e32 v112, v49, v112                              // 000000002CD0: 0AE0E131
	v_mul_f32_e32 v113, v49, v113                              // 000000002CD4: 0AE2E331
	v_mul_f32_e32 v114, v49, v114                              // 000000002CD8: 0AE4E531
	v_mul_f32_e32 v115, v49, v115                              // 000000002CDC: 0AE6E731
	v_or_b32_dpp v104, v108, v104 row_shr:8 row_mask:0xf bank_mask:0xf bound_ctrl:1// 000000002CE0: 28D0D0FA FF09186C
	v_or_b32_dpp v105, v109, v105 row_shr:8 row_mask:0xf bank_mask:0xf bound_ctrl:1// 000000002CE8: 28D2D2FA FF09186D
	v_or_b32_dpp v106, v110, v106 row_shr:8 row_mask:0xf bank_mask:0xf bound_ctrl:1// 000000002CF0: 28D4D4FA FF09186E
	v_or_b32_dpp v107, v111, v107 row_shr:8 row_mask:0xf bank_mask:0xf bound_ctrl:1// 000000002CF8: 28D6D6FA FF09186F
	s_waitcnt lgkmcnt(0)                                       // 000000002D00: BF8CC07F
	v_max3_f32 v48, v64, v65, v48                              // 000000002D04: D1D30030 04C28340
	v_max3_f32 v48, v66, v67, v48                              // 000000002D0C: D1D30030 04C28742
	v_max3_f32 v48, v68, v69, v48                              // 000000002D14: D1D30030 04C28B44
	v_max3_f32 v48, v70, v71, v48                              // 000000002D1C: D1D30030 04C28F46
	v_max3_f32 v48, v72, v73, v48                              // 000000002D24: D1D30030 04C29348
	v_max3_f32 v48, v74, v75, v48                              // 000000002D2C: D1D30030 04C2974A
	v_max3_f32 v48, v76, v77, v48                              // 000000002D34: D1D30030 04C29B4C
	v_max3_f32 v48, v78, v79, v48                              // 000000002D3C: D1D30030 04C29F4E
	buffer_load_dwordx4 a[64:67], v30, s[20:23], 0 offen       // 000000002D44: E05C1000 8085401E
	v_cmp_eq_u32_e64 s[40:41], v52, v14                        // 000000002D4C: D0CA0028 00021D34
	s_nop 1                                                    // 000000002D54: BF800001
	v_mov_b32_dpp v38, v48 row_ror:8 row_mask:0xf bank_mask:0xf// 000000002D58: 7E4C02FA FF012830
	v_max_f32_e32 v48, v48, v38                                // 000000002D60: 16604D30
	v_max_f32_e32 v15, v48, v14                                // 000000002D64: 161E1D30
	v_mul_f32_e32 v50, s64, v15                                // 000000002D68: 0A641E40
	v_fma_f32 v88, v88, s64, -v50                              // 000000002D6C: D1CB0058 84C88158
	v_fma_f32 v89, v89, s64, -v50                              // 000000002D74: D1CB0059 84C88159
	v_fma_f32 v90, v90, s64, -v50                              // 000000002D7C: D1CB005A 84C8815A
	v_fma_f32 v91, v91, s64, -v50                              // 000000002D84: D1CB005B 84C8815B
	v_fma_f32 v92, v92, s64, -v50                              // 000000002D8C: D1CB005C 84C8815C
	v_fma_f32 v93, v93, s64, -v50                              // 000000002D94: D1CB005D 84C8815D
	v_fma_f32 v94, v94, s64, -v50                              // 000000002D9C: D1CB005E 84C8815E
	v_fma_f32 v95, v95, s64, -v50                              // 000000002DA4: D1CB005F 84C8815F
	buffer_load_dwordx4 a[68:71], v31, s[20:23], 0 offen       // 000000002DAC: E05C1000 8085441F
	v_exp_f32_e32 v88, v88                                     // 000000002DB4: 7EB04158
	v_exp_f32_e32 v89, v89                                     // 000000002DB8: 7EB24159
	v_exp_f32_e32 v90, v90                                     // 000000002DBC: 7EB4415A
	v_exp_f32_e32 v91, v91                                     // 000000002DC0: 7EB6415B
	v_exp_f32_e32 v92, v92                                     // 000000002DC4: 7EB8415C
	v_exp_f32_e32 v93, v93                                     // 000000002DC8: 7EBA415D
	v_exp_f32_e32 v94, v94                                     // 000000002DCC: 7EBC415E
	v_exp_f32_e32 v95, v95                                     // 000000002DD0: 7EBE415F
	buffer_load_dwordx4 a[72:75], v32, s[20:23], 0 offen       // 000000002DD4: E05C1000 80854820
	v_mul_f32_dpp v116, v126, v88 quad_perm:[0,0,0,0] row_mask:0xf bank_mask:0xf// 000000002DDC: 0AE8B0FA FF00007E
	v_mul_f32_dpp v117, v126, v89 quad_perm:[1,1,1,1] row_mask:0xf bank_mask:0xf// 000000002DE4: 0AEAB2FA FF00557E
	v_mul_f32_dpp v118, v126, v90 quad_perm:[2,2,2,2] row_mask:0xf bank_mask:0xf// 000000002DEC: 0AECB4FA FF00AA7E
	v_mul_f32_dpp v119, v126, v91 quad_perm:[3,3,3,3] row_mask:0xf bank_mask:0xf// 000000002DF4: 0AEEB6FA FF00FF7E
	v_mul_f32_dpp v120, v127, v92 quad_perm:[0,0,0,0] row_mask:0xf bank_mask:0xf// 000000002DFC: 0AF0B8FA FF00007F
	v_mul_f32_dpp v121, v127, v93 quad_perm:[1,1,1,1] row_mask:0xf bank_mask:0xf// 000000002E04: 0AF2BAFA FF00557F
	v_mul_f32_dpp v122, v127, v94 quad_perm:[2,2,2,2] row_mask:0xf bank_mask:0xf// 000000002E0C: 0AF4BCFA FF00AA7F
	v_mul_f32_dpp v123, v127, v95 quad_perm:[3,3,3,3] row_mask:0xf bank_mask:0xf// 000000002E14: 0AF6BEFA FF00FF7F
	v_mov_b32_e32 v48, 0x358637bd                              // 000000002E1C: 7E6002FF 358637BD
	v_max3_f32 v48, |v116|, |v117|, v48                        // 000000002E24: D1D30330 04C2EB74
	v_max3_f32 v48, |v118|, |v119|, v48                        // 000000002E2C: D1D30330 04C2EF76
	v_max3_f32 v48, |v120|, |v121|, v48                        // 000000002E34: D1D30330 04C2F378
	v_max3_f32 v48, |v122|, |v123|, v48                        // 000000002E3C: D1D30330 04C2F77A
	buffer_load_dwordx4 a[76:79], v33, s[20:23], 0 offen       // 000000002E44: E05C1000 80854C21
	ds_write_b32 v11, v48 offset:5248                          // 000000002E4C: D81A1480 0000300B
	v_sub_f32_e32 v49, v14, v15                                // 000000002E54: 04621F0E
	v_cndmask_b32_e64 v49, v49, 0, s[40:41]                    // 000000002E58: D1000031 00A10131
	v_mov_b32_e32 v14, v15                                     // 000000002E60: 7E1C030F
	v_mul_f32_e32 v49, s64, v49                                // 000000002E64: 0A626240
	v_exp_f32_e32 v49, v49                                     // 000000002E68: 7E624131
	s_waitcnt lgkmcnt(0)                                       // 000000002E6C: BF8CC07F
	s_barrier                                                  // 000000002E70: BF8A0000
	ds_read_b32 v64, v10 offset:5248                           // 000000002E74: D86C1480 4000000A
	ds_read_b32 v65, v10 offset:5312                           // 000000002E7C: D86C14C0 4100000A
	ds_read_b32 v66, v10 offset:5376                           // 000000002E84: D86C1500 4200000A
	ds_read_b32 v67, v10 offset:5440                           // 000000002E8C: D86C1540 4300000A
	ds_read_b32 v68, v10 offset:5504                           // 000000002E94: D86C1580 4400000A
	ds_read_b32 v69, v10 offset:5568                           // 000000002E9C: D86C15C0 4500000A
	ds_read_b32 v70, v10 offset:5632                           // 000000002EA4: D86C1600 4600000A
	ds_read_b32 v71, v10 offset:5696                           // 000000002EAC: D86C1640 4700000A
	ds_read_b32 v72, v10 offset:5760                           // 000000002EB4: D86C1680 4800000A
	ds_read_b32 v73, v10 offset:5824                           // 000000002EBC: D86C16C0 4900000A
	ds_read_b32 v74, v10 offset:5888                           // 000000002EC4: D86C1700 4A00000A
	ds_read_b32 v75, v10 offset:5952                           // 000000002ECC: D86C1740 4B00000A
	ds_read_b32 v76, v10 offset:6016                           // 000000002ED4: D86C1780 4C00000A
	ds_read_b32 v77, v10 offset:6080                           // 000000002EDC: D86C17C0 4D00000A
	ds_read_b32 v78, v10 offset:6144                           // 000000002EE4: D86C1800 4E00000A
	ds_read_b32 v79, v10 offset:6208                           // 000000002EEC: D86C1840 4F00000A
	v_mul_f32_e32 v42, v49, v42                                // 000000002EF4: 0A545531
	v_mov_b32_e32 v43, v88                                     // 000000002EF8: 7E560358
	v_add_f32_e32 v43, v89, v43                                // 000000002EFC: 02565759
	v_add_f32_e32 v43, v90, v43                                // 000000002F00: 0256575A
	v_add_f32_e32 v43, v91, v43                                // 000000002F04: 0256575B
	v_add_f32_e32 v43, v92, v43                                // 000000002F08: 0256575C
	v_add_f32_e32 v43, v93, v43                                // 000000002F0C: 0256575D
	v_add_f32_e32 v43, v94, v43                                // 000000002F10: 0256575E
	v_add_f32_e32 v43, v95, v43                                // 000000002F14: 0256575F
	v_add_f32_e32 v42, v43, v42                                // 000000002F18: 0254552B
	s_waitcnt lgkmcnt(0)                                       // 000000002F1C: BF8CC07F
	v_max3_f32 v48, |v64|, |v65|, v48                          // 000000002F20: D1D30330 04C28340
	v_max3_f32 v48, |v66|, |v67|, v48                          // 000000002F28: D1D30330 04C28742
	v_max3_f32 v48, |v68|, |v69|, v48                          // 000000002F30: D1D30330 04C28B44
	v_max3_f32 v48, |v70|, |v71|, v48                          // 000000002F38: D1D30330 04C28F46
	v_max3_f32 v48, |v72|, |v73|, v48                          // 000000002F40: D1D30330 04C29348
	v_max3_f32 v48, |v74|, |v75|, v48                          // 000000002F48: D1D30330 04C2974A
	v_max3_f32 v48, |v76|, |v77|, v48                          // 000000002F50: D1D30330 04C29B4C
	v_max3_f32 v48, |v78|, |v79|, v48                          // 000000002F58: D1D30330 04C29F4E
	s_nop 2                                                    // 000000002F60: BF800002
	v_mov_b32_dpp v38, v48 row_ror:8 row_mask:0xf bank_mask:0xf// 000000002F64: 7E4C02FA FF012830
	v_max_f32_e32 v48, v48, v38                                // 000000002F6C: 16604D30
	v_rcp_f32_e32 v48, v48                                     // 000000002F70: 7E604530
	s_nop 1                                                    // 000000002F74: BF800001
	v_mul_f32_e32 v48, 0x42fe0000, v48                         // 000000002F78: 0A6060FF 42FE0000
	v_mul_f32_e32 v88, v48, v116                               // 000000002F80: 0AB0E930
	v_mul_f32_e32 v89, v48, v117                               // 000000002F84: 0AB2EB30
	v_mul_f32_e32 v90, v48, v118                               // 000000002F88: 0AB4ED30
	v_mul_f32_e32 v91, v48, v119                               // 000000002F8C: 0AB6EF30
	v_mul_f32_e32 v92, v48, v120                               // 000000002F90: 0AB8F130
	v_mul_f32_e32 v93, v48, v121                               // 000000002F94: 0ABAF330
	v_mul_f32_e32 v94, v48, v122                               // 000000002F98: 0ABCF530
	v_mul_f32_e32 v95, v48, v123                               // 000000002F9C: 0ABEF730
	v_cvt_i32_f32_e32 v88, v88                                 // 000000002FA0: 7EB01158
	v_cvt_i32_f32_e32 v89, v89                                 // 000000002FA4: 7EB21159
	v_cvt_i32_f32_e32 v90, v90                                 // 000000002FA8: 7EB4115A
	v_cvt_i32_f32_e32 v91, v91                                 // 000000002FAC: 7EB6115B
	v_cvt_i32_f32_e32 v92, v92                                 // 000000002FB0: 7EB8115C
	v_cvt_i32_f32_e32 v93, v93                                 // 000000002FB4: 7EBA115D
	v_cvt_i32_f32_e32 v94, v94                                 // 000000002FB8: 7EBC115E
	v_cvt_i32_f32_e32 v95, v95                                 // 000000002FBC: 7EBE115F
	v_perm_b32 v88, v89, v88, s53                              // 000000002FC0: D1ED0058 00D6B159
	v_perm_b32 v88, v90, v88, s54                              // 000000002FC8: D1ED0058 00DAB15A
	v_perm_b32 v88, v91, v88, s55                              // 000000002FD0: D1ED0058 00DEB15B
	v_perm_b32 v89, v93, v92, s53                              // 000000002FD8: D1ED0059 00D6B95D
	v_perm_b32 v89, v94, v89, s54                              // 000000002FE0: D1ED0059 00DAB35E
	v_perm_b32 v89, v95, v89, s55                              // 000000002FE8: D1ED0059 00DEB35F
	ds_write_b32 v13, v88 offset:6272                          // 000000002FF0: D81A1880 0000580D
	ds_write_b32 v13, v89 offset:7296                          // 000000002FF8: D81A1C80 0000590D
	v_cvt_f32_i32_e32 v104, v104                               // 000000003000: 7ED00B68
	v_cvt_f32_i32_e32 v105, v105                               // 000000003004: 7ED20B69
	v_cvt_f32_i32_e32 v106, v106                               // 000000003008: 7ED40B6A
	v_cvt_f32_i32_e32 v107, v107                               // 00000000300C: 7ED60B6B
	v_mul_f32_e32 v104, v47, v104                              // 000000003010: 0AD0D12F
	v_mul_f32_e32 v105, v47, v105                              // 000000003014: 0AD2D32F
	v_mul_f32_e32 v106, v47, v106                              // 000000003018: 0AD4D52F
	v_mul_f32_e32 v107, v47, v107                              // 00000000301C: 0AD6D72F
	v_rcp_f32_e32 v47, v48                                     // 000000003020: 7E5E4530
	s_waitcnt lgkmcnt(0)                                       // 000000003024: BF8CC07F
	s_barrier                                                  // 000000003028: BF8A0000
	ds_read_b64 v[88:89], v12 offset:6272                      // 00000000302C: D8EC1880 5800000C
	ds_read_b64 v[90:91], v12 offset:6400                      // 000000003034: D8EC1900 5A00000C
	ds_read_b64 v[92:93], v12 offset:7296                      // 00000000303C: D8EC1C80 5C00000C
	ds_read_b64 v[94:95], v12 offset:7424                      // 000000003044: D8EC1D00 5E00000C
	v_add_f32_e32 v112, v112, v104                             // 00000000304C: 02E0D170
	v_add_f32_e32 v113, v113, v105                             // 000000003050: 02E2D371
	v_add_f32_e32 v114, v114, v106                             // 000000003054: 02E4D572
	v_add_f32_e32 v115, v115, v107                             // 000000003058: 02E6D773
	s_waitcnt lgkmcnt(3)                                       // 00000000305C: BF8CC37F
	v_mov_b32_dpp v96, v88 row_shl:8 row_mask:0xf bank_mask:0xf bound_ctrl:1// 000000003060: 7EC002FA FF090858
	v_and_b32_e32 v88, v88, v9                                 // 000000003068: 26B01358
	v_mov_b32_dpp v97, v89 row_shl:8 row_mask:0xf bank_mask:0xf bound_ctrl:1// 00000000306C: 7EC202FA FF090859
	v_and_b32_e32 v89, v89, v9                                 // 000000003074: 26B21359
	s_waitcnt lgkmcnt(2)                                       // 000000003078: BF8CC27F
	v_mov_b32_dpp v98, v90 row_shl:8 row_mask:0xf bank_mask:0xf bound_ctrl:1// 00000000307C: 7EC402FA FF09085A
	v_and_b32_e32 v90, v90, v9                                 // 000000003084: 26B4135A
	v_mov_b32_dpp v99, v91 row_shl:8 row_mask:0xf bank_mask:0xf bound_ctrl:1// 000000003088: 7EC602FA FF09085B
	v_and_b32_e32 v91, v91, v9                                 // 000000003090: 26B6135B
	s_waitcnt lgkmcnt(1)                                       // 000000003094: BF8CC17F
	v_mov_b32_dpp v100, v92 row_shl:8 row_mask:0xf bank_mask:0xf bound_ctrl:1// 000000003098: 7EC802FA FF09085C
	v_and_b32_e32 v92, v92, v9                                 // 0000000030A0: 26B8135C
	v_mov_b32_dpp v101, v93 row_shl:8 row_mask:0xf bank_mask:0xf bound_ctrl:1// 0000000030A4: 7ECA02FA FF09085D
	v_and_b32_e32 v93, v93, v9                                 // 0000000030AC: 26BA135D
	s_waitcnt lgkmcnt(0)                                       // 0000000030B0: BF8CC07F
	v_mov_b32_dpp v102, v94 row_shl:8 row_mask:0xf bank_mask:0xf bound_ctrl:1// 0000000030B4: 7ECC02FA FF09085E
	v_and_b32_e32 v94, v94, v9                                 // 0000000030BC: 26BC135E
	v_mov_b32_dpp v103, v95 row_shl:8 row_mask:0xf bank_mask:0xf bound_ctrl:1// 0000000030C0: 7ECE02FA FF09085F
	v_and_b32_e32 v95, v95, v9                                 // 0000000030C8: 26BE135F
	s_waitcnt vmcnt(15)                                        // 0000000030CC: BF8C0F7F
	v_mfma_i32_16x16x32_i8 v[104:107], a[96:97], v[88:89], 0   // 0000000030D0: D3D70068 0A02B160
	v_mfma_i32_16x16x32_i8 v[104:107], a[98:99], v[90:91], v[104:107]// 0000000030D8: D3D70068 0DA2B562
	buffer_load_dwordx4 a[80:83], v30, s[20:23], 0 offen offset:1024// 0000000030E0: E05C1400 8085501E
	v_mfma_i32_16x16x32_i8 v[104:107], a[100:101], v[92:93], v[104:107]// 0000000030E8: D3D70068 0DA2B964
	v_mfma_i32_16x16x32_i8 v[104:107], a[102:103], v[94:95], v[104:107]// 0000000030F0: D3D70068 0DA2BD66
	v_mfma_i32_16x16x32_i8 v[104:107], a[104:105], v[96:97], v[104:107]// 0000000030F8: D3D70068 0DA2C168
	v_mfma_i32_16x16x32_i8 v[104:107], a[106:107], v[98:99], v[104:107]// 000000003100: D3D70068 0DA2C56A
	buffer_load_dwordx4 a[84:87], v31, s[20:23], 0 offen offset:1024// 000000003108: E05C1400 8085541F
	v_mfma_i32_16x16x32_i8 v[104:107], a[108:109], v[100:101], v[104:107]// 000000003110: D3D70068 0DA2C96C
	v_mfma_i32_16x16x32_i8 v[104:107], a[110:111], v[102:103], v[104:107]// 000000003118: D3D70068 0DA2CD6E
	v_mfma_i32_16x16x32_i8 v[108:111], a[112:113], v[88:89], 0 // 000000003120: D3D7006C 0A02B170
	v_mfma_i32_16x16x32_i8 v[108:111], a[114:115], v[90:91], v[108:111]// 000000003128: D3D7006C 0DB2B572
	buffer_load_dwordx4 a[88:91], v32, s[20:23], 0 offen offset:1024// 000000003130: E05C1400 80855820
	v_mfma_i32_16x16x32_i8 v[108:111], a[116:117], v[92:93], v[108:111]// 000000003138: D3D7006C 0DB2B974
	v_mfma_i32_16x16x32_i8 v[108:111], a[118:119], v[94:95], v[108:111]// 000000003140: D3D7006C 0DB2BD76
	v_mfma_i32_16x16x32_i8 v[108:111], a[120:121], v[96:97], v[108:111]// 000000003148: D3D7006C 0DB2C178
	v_mfma_i32_16x16x32_i8 v[108:111], a[122:123], v[98:99], v[108:111]// 000000003150: D3D7006C 0DB2C57A
	buffer_load_dwordx4 a[92:95], v33, s[20:23], 0 offen offset:1024// 000000003158: E05C1400 80855C21
	v_mfma_i32_16x16x32_i8 v[108:111], a[124:125], v[100:101], v[108:111]// 000000003160: D3D7006C 0DB2C97C
	s_lshr_b32 s57, s70, 4                                     // 000000003168: 8F398446
	s_add_u32 s57, 48, s57                                     // 00000000316C: 803939B0
	v_mfma_i32_16x16x32_i8 v[108:111], a[126:127], v[102:103], v[108:111]// 000000003170: D3D7006C 0DB2CD7E
	s_cmp_ge_u32 s57, s73                                      // 000000003178: BF094939
	s_cselect_b32 s56, 0, s56                                  // 00000000317C: 85383880
	v_add_u32_e32 v1, s56, v1                                  // 000000003180: 68020238
	s_addk_i32 s70, 0x100                                      // 000000003184: B7460100
	s_cmp_lt_i32 s70, s71                                      // 000000003188: BF044746
	s_cbranch_scc0 label_05E5                                  // 00000000318C: BF840001
	s_branch label_0200                                        // 000000003190: BF82FC1B

0000000000003194 <label_05E5>:
	s_nop 0                                                    // 000000003194: BF800000
	s_nop 0                                                    // 000000003198: BF800000
	s_branch label_09CD                                        // 00000000319C: BF8203E5

00000000000031a0 <label_05E8>:
	s_waitcnt vmcnt(8) lgkmcnt(0)                              // 0000000031A0: BF8C0078
	v_mul_u32_u24_dpp v38, v17, v51 row_newbcast:0 row_mask:0xf bank_mask:0xf// 0000000031A4: 104C66FA FF015011
	v_mul_u32_u24_dpp v39, v17, v51 row_newbcast:4 row_mask:0xf bank_mask:0xf// 0000000031AC: 104E66FA FF015411
	v_mul_u32_u24_dpp v40, v17, v51 row_newbcast:8 row_mask:0xf bank_mask:0xf// 0000000031B4: 105066FA FF015811
	v_mul_u32_u24_dpp v41, v17, v51 row_newbcast:12 row_mask:0xf bank_mask:0xf// 0000000031BC: 105266FA FF015C11
	v_add_u32_e32 v26, v38, v6                                 // 0000000031C4: 68340D26
	v_add_u32_e32 v27, v39, v6                                 // 0000000031C8: 68360D27
	v_add_u32_e32 v28, v40, v6                                 // 0000000031CC: 68380D28
	v_add_u32_e32 v29, v41, v6                                 // 0000000031D0: 683A0D29
	v_mul_u32_u24_dpp v38, v17, v61 quad_perm:[0,0,0,0] row_mask:0xf bank_mask:0xf// 0000000031D4: 104C7AFA FF000011
	v_add_u32_e32 v3, v38, v57                                 // 0000000031DC: 68067326
	v_mul_u32_u24_dpp v38, v17, v61 quad_perm:[0,0,0,0] row_mask:0xf bank_mask:0xf// 0000000031E0: 104C7AFA FF000011
	v_add_u32_e32 v54, v38, v58                                // 0000000031E8: 686C7526
	v_mfma_i32_16x16x32_i8 v[88:91], a[0:1], v[80:81], 0       // 0000000031EC: D3D70058 0A02A100
	buffer_load_dwordx4 a[32:35], v26, s[16:19], 0 offen       // 0000000031F4: E05C1000 8084201A
	v_mfma_i32_16x16x32_i8 v[88:91], a[2:3], v[82:83], v[88:91]// 0000000031FC: D3D70058 0D62A502
	v_mfma_i32_16x16x32_i8 v[88:91], a[4:5], v[84:85], v[88:91]// 000000003204: D3D70058 0D62A904
	buffer_load_dword v16, v1, s[24:27], 0 offen               // 00000000320C: E0501000 80061001
	v_mfma_i32_16x16x32_i8 v[88:91], a[6:7], v[86:87], v[88:91]// 000000003214: D3D70058 0D62AD06
	v_mfma_i32_16x16x32_i8 v[92:95], a[8:9], v[80:81], 0       // 00000000321C: D3D7005C 0A02A108
	buffer_load_dwordx4 a[36:39], v26, s[16:19], 0 offen offset:1024// 000000003224: E05C1400 8084241A
	v_mfma_i32_16x16x32_i8 v[92:95], a[10:11], v[82:83], v[92:95]// 00000000322C: D3D7005C 0D72A50A
	v_mfma_i32_16x16x32_i8 v[92:95], a[12:13], v[84:85], v[92:95]// 000000003234: D3D7005C 0D72A90C
	v_mfma_i32_16x16x32_i8 v[92:95], a[14:15], v[86:87], v[92:95]// 00000000323C: D3D7005C 0D72AD0E
	v_mfma_i32_16x16x32_i8 v[96:99], a[16:17], v[80:81], 0     // 000000003244: D3D70060 0A02A110
	buffer_load_dwordx4 a[40:43], v27, s[16:19], 0 offen       // 00000000324C: E05C1000 8084281B
	v_mfma_i32_16x16x32_i8 v[96:99], a[18:19], v[82:83], v[96:99]// 000000003254: D3D70060 0D82A512
	v_mfma_i32_16x16x32_i8 v[96:99], a[20:21], v[84:85], v[96:99]// 00000000325C: D3D70060 0D82A914
	v_mfma_i32_16x16x32_i8 v[96:99], a[22:23], v[86:87], v[96:99]// 000000003264: D3D70060 0D82AD16
	v_mfma_i32_16x16x32_i8 v[100:103], a[24:25], v[80:81], 0   // 00000000326C: D3D70064 0A02A118
	buffer_load_dwordx4 a[44:47], v27, s[16:19], 0 offen offset:1024// 000000003274: E05C1400 80842C1B
	v_mfma_i32_16x16x32_i8 v[100:103], a[26:27], v[82:83], v[100:103]// 00000000327C: D3D70064 0D92A51A
	v_mfma_i32_16x16x32_i8 v[100:103], a[28:29], v[84:85], v[100:103]// 000000003284: D3D70064 0D92A91C
	v_mfma_i32_16x16x32_i8 v[100:103], a[30:31], v[86:87], v[100:103]// 00000000328C: D3D70064 0D92AD1E
	buffer_load_dword v45, v3, s[32:35], 0 offen               // 000000003294: E0501000 80082D03
	v_mov_b32_dpp v38, v44 row_shr:4 row_mask:0xf bank_mask:0xf// 00000000329C: 7E4C02FA FF01142C
	v_mov_b32_dpp v39, v44 row_shl:4 row_mask:0xf bank_mask:0xf// 0000000032A4: 7E4E02FA FF01042C
	v_cndmask_b32_e64 v124, v44, v38, s[44:45]                 // 0000000032AC: D100007C 00B24D2C
	v_cndmask_b32_e64 v125, v39, v44, s[44:45]                 // 0000000032B4: D100007D 00B25927
	v_mov_b32_dpp v38, v55 row_shr:4 row_mask:0xf bank_mask:0xf// 0000000032BC: 7E4C02FA FF011437
	v_mov_b32_dpp v39, v55 row_shl:4 row_mask:0xf bank_mask:0xf// 0000000032C4: 7E4E02FA FF010437
	v_cndmask_b32_e64 v126, v55, v38, s[44:45]                 // 0000000032CC: D100007E 00B24D37
	v_cndmask_b32_e64 v127, v39, v55, s[44:45]                 // 0000000032D4: D100007F 00B26F27
	v_or_b32_dpp v88, v96, v88 row_shr:8 row_mask:0xf bank_mask:0xf bound_ctrl:1// 0000000032DC: 28B0B0FA FF091860
	v_or_b32_dpp v89, v97, v89 row_shr:8 row_mask:0xf bank_mask:0xf bound_ctrl:1// 0000000032E4: 28B2B2FA FF091861
	v_or_b32_dpp v90, v98, v90 row_shr:8 row_mask:0xf bank_mask:0xf bound_ctrl:1// 0000000032EC: 28B4B4FA FF091862
	v_or_b32_dpp v91, v99, v91 row_shr:8 row_mask:0xf bank_mask:0xf bound_ctrl:1// 0000000032F4: 28B6B6FA FF091863
	v_or_b32_dpp v92, v100, v92 row_shr:8 row_mask:0xf bank_mask:0xf bound_ctrl:1// 0000000032FC: 28B8B8FA FF091864
	v_or_b32_dpp v93, v101, v93 row_shr:8 row_mask:0xf bank_mask:0xf bound_ctrl:1// 000000003304: 28BABAFA FF091865
	v_or_b32_dpp v94, v102, v94 row_shr:8 row_mask:0xf bank_mask:0xf bound_ctrl:1// 00000000330C: 28BCBCFA FF091866
	v_or_b32_dpp v95, v103, v95 row_shr:8 row_mask:0xf bank_mask:0xf bound_ctrl:1// 000000003314: 28BEBEFA FF091867
	buffer_load_dword v56, v54, s[36:39], 0 offen              // 00000000331C: E0501000 80093836
	v_cvt_f32_i32_e32 v88, v88                                 // 000000003324: 7EB00B58
	v_cvt_f32_i32_e32 v89, v89                                 // 000000003328: 7EB20B59
	v_cvt_f32_i32_e32 v90, v90                                 // 00000000332C: 7EB40B5A
	v_cvt_f32_i32_e32 v91, v91                                 // 000000003330: 7EB60B5B
	v_cvt_f32_i32_e32 v92, v92                                 // 000000003334: 7EB80B5C
	v_cvt_f32_i32_e32 v93, v93                                 // 000000003338: 7EBA0B5D
	v_cvt_f32_i32_e32 v94, v94                                 // 00000000333C: 7EBC0B5E
	v_cvt_f32_i32_e32 v95, v95                                 // 000000003340: 7EBE0B5F
	v_mul_f32_e32 v88, v46, v88                                // 000000003344: 0AB0B12E
	v_mul_f32_e32 v89, v46, v89                                // 000000003348: 0AB2B32E
	v_mul_f32_e32 v90, v46, v90                                // 00000000334C: 0AB4B52E
	v_mul_f32_e32 v91, v46, v91                                // 000000003350: 0AB6B72E
	v_mul_f32_e32 v92, v46, v92                                // 000000003354: 0AB8B92E
	v_mul_f32_e32 v93, v46, v93                                // 000000003358: 0ABABB2E
	v_mul_f32_e32 v94, v46, v94                                // 00000000335C: 0ABCBD2E
	v_mul_f32_e32 v95, v46, v95                                // 000000003360: 0ABEBF2E
	buffer_load_dwordx4 a[48:51], v28, s[16:19], 0 offen       // 000000003364: E05C1000 8084301C
	v_mul_f32_dpp v88, v124, v88 quad_perm:[0,0,0,0] row_mask:0xf bank_mask:0xf// 00000000336C: 0AB0B0FA FF00007C
	v_mul_f32_dpp v89, v124, v89 quad_perm:[1,1,1,1] row_mask:0xf bank_mask:0xf// 000000003374: 0AB2B2FA FF00557C
	v_mul_f32_dpp v90, v124, v90 quad_perm:[2,2,2,2] row_mask:0xf bank_mask:0xf// 00000000337C: 0AB4B4FA FF00AA7C
	v_mul_f32_dpp v91, v124, v91 quad_perm:[3,3,3,3] row_mask:0xf bank_mask:0xf// 000000003384: 0AB6B6FA FF00FF7C
	v_mul_f32_dpp v92, v125, v92 quad_perm:[0,0,0,0] row_mask:0xf bank_mask:0xf// 00000000338C: 0AB8B8FA FF00007D
	v_mul_f32_dpp v93, v125, v93 quad_perm:[1,1,1,1] row_mask:0xf bank_mask:0xf// 000000003394: 0ABABAFA FF00557D
	v_mul_f32_dpp v94, v125, v94 quad_perm:[2,2,2,2] row_mask:0xf bank_mask:0xf// 00000000339C: 0ABCBCFA FF00AA7D
	v_mul_f32_dpp v95, v125, v95 quad_perm:[3,3,3,3] row_mask:0xf bank_mask:0xf// 0000000033A4: 0ABEBEFA FF00FF7D
	buffer_load_dwordx4 a[52:55], v28, s[16:19], 0 offen offset:1024// 0000000033AC: E05C1400 8084341C
	v_mov_b32_e32 v48, v88                                     // 0000000033B4: 7E600358
	v_max3_f32 v48, v88, v89, v48                              // 0000000033B8: D1D30030 04C2B358
	v_max3_f32 v48, v90, v91, v48                              // 0000000033C0: D1D30030 04C2B75A
	v_max3_f32 v48, v92, v93, v48                              // 0000000033C8: D1D30030 04C2BB5C
	v_max3_f32 v48, v94, v95, v48                              // 0000000033D0: D1D30030 04C2BF5E
	ds_write_b32 v11, v48 offset:4224                          // 0000000033D8: D81A1080 0000300B
	buffer_load_dwordx4 a[56:59], v29, s[16:19], 0 offen       // 0000000033E0: E05C1000 8084381D
	v_mul_u32_u24_dpp v38, v17, v51 row_newbcast:1 row_mask:0xf bank_mask:0xf// 0000000033E8: 104C66FA FF015111
	v_mul_u32_u24_dpp v39, v17, v51 row_newbcast:5 row_mask:0xf bank_mask:0xf// 0000000033F0: 104E66FA FF015511
	v_mul_u32_u24_dpp v40, v17, v51 row_newbcast:9 row_mask:0xf bank_mask:0xf// 0000000033F8: 105066FA FF015911
	v_mul_u32_u24_dpp v41, v17, v51 row_newbcast:13 row_mask:0xf bank_mask:0xf// 000000003400: 105266FA FF015D11
	v_add_u32_e32 v34, v38, v7                                 // 000000003408: 68440F26
	v_add_u32_e32 v35, v39, v7                                 // 00000000340C: 68460F27
	v_add_u32_e32 v36, v40, v7                                 // 000000003410: 68480F28
	v_add_u32_e32 v37, v41, v7                                 // 000000003414: 684A0F29
	s_waitcnt lgkmcnt(0)                                       // 000000003418: BF8CC07F
	s_barrier                                                  // 00000000341C: BF8A0000
	ds_read_b32 v64, v10 offset:4224                           // 000000003420: D86C1080 4000000A
	ds_read_b32 v65, v10 offset:4288                           // 000000003428: D86C10C0 4100000A
	ds_read_b32 v66, v10 offset:4352                           // 000000003430: D86C1100 4200000A
	ds_read_b32 v67, v10 offset:4416                           // 000000003438: D86C1140 4300000A
	ds_read_b32 v68, v10 offset:4480                           // 000000003440: D86C1180 4400000A
	ds_read_b32 v69, v10 offset:4544                           // 000000003448: D86C11C0 4500000A
	ds_read_b32 v70, v10 offset:4608                           // 000000003450: D86C1200 4600000A
	ds_read_b32 v71, v10 offset:4672                           // 000000003458: D86C1240 4700000A
	ds_read_b32 v72, v10 offset:4736                           // 000000003460: D86C1280 4800000A
	ds_read_b32 v73, v10 offset:4800                           // 000000003468: D86C12C0 4900000A
	ds_read_b32 v74, v10 offset:4864                           // 000000003470: D86C1300 4A00000A
	ds_read_b32 v75, v10 offset:4928                           // 000000003478: D86C1340 4B00000A
	ds_read_b32 v76, v10 offset:4992                           // 000000003480: D86C1380 4C00000A
	ds_read_b32 v77, v10 offset:5056                           // 000000003488: D86C13C0 4D00000A
	ds_read_b32 v78, v10 offset:5120                           // 000000003490: D86C1400 4E00000A
	ds_read_b32 v79, v10 offset:5184                           // 000000003498: D86C1440 4F00000A
	buffer_load_dwordx4 a[60:63], v29, s[16:19], 0 offen offset:1024// 0000000034A0: E05C1400 80843C1D
	v_mul_f32_e32 v112, v49, v112                              // 0000000034A8: 0AE0E131
	v_mul_f32_e32 v113, v49, v113                              // 0000000034AC: 0AE2E331
	v_mul_f32_e32 v114, v49, v114                              // 0000000034B0: 0AE4E531
	v_mul_f32_e32 v115, v49, v115                              // 0000000034B4: 0AE6E731
	v_or_b32_dpp v104, v108, v104 row_shr:8 row_mask:0xf bank_mask:0xf bound_ctrl:1// 0000000034B8: 28D0D0FA FF09186C
	v_or_b32_dpp v105, v109, v105 row_shr:8 row_mask:0xf bank_mask:0xf bound_ctrl:1// 0000000034C0: 28D2D2FA FF09186D
	v_or_b32_dpp v106, v110, v106 row_shr:8 row_mask:0xf bank_mask:0xf bound_ctrl:1// 0000000034C8: 28D4D4FA FF09186E
	v_or_b32_dpp v107, v111, v107 row_shr:8 row_mask:0xf bank_mask:0xf bound_ctrl:1// 0000000034D0: 28D6D6FA FF09186F
	s_waitcnt lgkmcnt(0)                                       // 0000000034D8: BF8CC07F
	v_max3_f32 v48, v64, v65, v48                              // 0000000034DC: D1D30030 04C28340
	v_max3_f32 v48, v66, v67, v48                              // 0000000034E4: D1D30030 04C28742
	v_max3_f32 v48, v68, v69, v48                              // 0000000034EC: D1D30030 04C28B44
	v_max3_f32 v48, v70, v71, v48                              // 0000000034F4: D1D30030 04C28F46
	v_max3_f32 v48, v72, v73, v48                              // 0000000034FC: D1D30030 04C29348
	v_max3_f32 v48, v74, v75, v48                              // 000000003504: D1D30030 04C2974A
	v_max3_f32 v48, v76, v77, v48                              // 00000000350C: D1D30030 04C29B4C
	v_max3_f32 v48, v78, v79, v48                              // 000000003514: D1D30030 04C29F4E
	buffer_load_dwordx4 a[96:99], v34, s[20:23], 0 offen       // 00000000351C: E05C1000 80856022
	v_cmp_eq_u32_e64 s[40:41], v52, v14                        // 000000003524: D0CA0028 00021D34
	s_nop 1                                                    // 00000000352C: BF800001
	v_mov_b32_dpp v38, v48 row_ror:8 row_mask:0xf bank_mask:0xf// 000000003530: 7E4C02FA FF012830
	v_max_f32_e32 v48, v48, v38                                // 000000003538: 16604D30
	v_max_f32_e32 v15, v48, v14                                // 00000000353C: 161E1D30
	v_mul_f32_e32 v50, s64, v15                                // 000000003540: 0A641E40
	v_fma_f32 v88, v88, s64, -v50                              // 000000003544: D1CB0058 84C88158
	v_fma_f32 v89, v89, s64, -v50                              // 00000000354C: D1CB0059 84C88159
	v_fma_f32 v90, v90, s64, -v50                              // 000000003554: D1CB005A 84C8815A
	v_fma_f32 v91, v91, s64, -v50                              // 00000000355C: D1CB005B 84C8815B
	v_fma_f32 v92, v92, s64, -v50                              // 000000003564: D1CB005C 84C8815C
	v_fma_f32 v93, v93, s64, -v50                              // 00000000356C: D1CB005D 84C8815D
	v_fma_f32 v94, v94, s64, -v50                              // 000000003574: D1CB005E 84C8815E
	v_fma_f32 v95, v95, s64, -v50                              // 00000000357C: D1CB005F 84C8815F
	buffer_load_dwordx4 a[100:103], v35, s[20:23], 0 offen     // 000000003584: E05C1000 80856423
	v_exp_f32_e32 v88, v88                                     // 00000000358C: 7EB04158
	v_exp_f32_e32 v89, v89                                     // 000000003590: 7EB24159
	v_exp_f32_e32 v90, v90                                     // 000000003594: 7EB4415A
	v_exp_f32_e32 v91, v91                                     // 000000003598: 7EB6415B
	v_exp_f32_e32 v92, v92                                     // 00000000359C: 7EB8415C
	v_exp_f32_e32 v93, v93                                     // 0000000035A0: 7EBA415D
	v_exp_f32_e32 v94, v94                                     // 0000000035A4: 7EBC415E
	v_exp_f32_e32 v95, v95                                     // 0000000035A8: 7EBE415F
	buffer_load_dwordx4 a[104:107], v36, s[20:23], 0 offen     // 0000000035AC: E05C1000 80856824
	v_mul_f32_dpp v116, v126, v88 quad_perm:[0,0,0,0] row_mask:0xf bank_mask:0xf// 0000000035B4: 0AE8B0FA FF00007E
	v_mul_f32_dpp v117, v126, v89 quad_perm:[1,1,1,1] row_mask:0xf bank_mask:0xf// 0000000035BC: 0AEAB2FA FF00557E
	v_mul_f32_dpp v118, v126, v90 quad_perm:[2,2,2,2] row_mask:0xf bank_mask:0xf// 0000000035C4: 0AECB4FA FF00AA7E
	v_mul_f32_dpp v119, v126, v91 quad_perm:[3,3,3,3] row_mask:0xf bank_mask:0xf// 0000000035CC: 0AEEB6FA FF00FF7E
	v_mul_f32_dpp v120, v127, v92 quad_perm:[0,0,0,0] row_mask:0xf bank_mask:0xf// 0000000035D4: 0AF0B8FA FF00007F
	v_mul_f32_dpp v121, v127, v93 quad_perm:[1,1,1,1] row_mask:0xf bank_mask:0xf// 0000000035DC: 0AF2BAFA FF00557F
	v_mul_f32_dpp v122, v127, v94 quad_perm:[2,2,2,2] row_mask:0xf bank_mask:0xf// 0000000035E4: 0AF4BCFA FF00AA7F
	v_mul_f32_dpp v123, v127, v95 quad_perm:[3,3,3,3] row_mask:0xf bank_mask:0xf// 0000000035EC: 0AF6BEFA FF00FF7F
	v_mov_b32_e32 v48, 0x358637bd                              // 0000000035F4: 7E6002FF 358637BD
	v_max3_f32 v48, |v116|, |v117|, v48                        // 0000000035FC: D1D30330 04C2EB74
	v_max3_f32 v48, |v118|, |v119|, v48                        // 000000003604: D1D30330 04C2EF76
	v_max3_f32 v48, |v120|, |v121|, v48                        // 00000000360C: D1D30330 04C2F378
	v_max3_f32 v48, |v122|, |v123|, v48                        // 000000003614: D1D30330 04C2F77A
	buffer_load_dwordx4 a[108:111], v37, s[20:23], 0 offen     // 00000000361C: E05C1000 80856C25
	ds_write_b32 v11, v48 offset:5248                          // 000000003624: D81A1480 0000300B
	v_sub_f32_e32 v49, v14, v15                                // 00000000362C: 04621F0E
	v_cndmask_b32_e64 v49, v49, 0, s[40:41]                    // 000000003630: D1000031 00A10131
	v_mov_b32_e32 v14, v15                                     // 000000003638: 7E1C030F
	v_mul_f32_e32 v49, s64, v49                                // 00000000363C: 0A626240
	v_exp_f32_e32 v49, v49                                     // 000000003640: 7E624131
	s_waitcnt lgkmcnt(0)                                       // 000000003644: BF8CC07F
	s_barrier                                                  // 000000003648: BF8A0000
	ds_read_b32 v64, v10 offset:5248                           // 00000000364C: D86C1480 4000000A
	ds_read_b32 v65, v10 offset:5312                           // 000000003654: D86C14C0 4100000A
	ds_read_b32 v66, v10 offset:5376                           // 00000000365C: D86C1500 4200000A
	ds_read_b32 v67, v10 offset:5440                           // 000000003664: D86C1540 4300000A
	ds_read_b32 v68, v10 offset:5504                           // 00000000366C: D86C1580 4400000A
	ds_read_b32 v69, v10 offset:5568                           // 000000003674: D86C15C0 4500000A
	ds_read_b32 v70, v10 offset:5632                           // 00000000367C: D86C1600 4600000A
	ds_read_b32 v71, v10 offset:5696                           // 000000003684: D86C1640 4700000A
	ds_read_b32 v72, v10 offset:5760                           // 00000000368C: D86C1680 4800000A
	ds_read_b32 v73, v10 offset:5824                           // 000000003694: D86C16C0 4900000A
	ds_read_b32 v74, v10 offset:5888                           // 00000000369C: D86C1700 4A00000A
	ds_read_b32 v75, v10 offset:5952                           // 0000000036A4: D86C1740 4B00000A
	ds_read_b32 v76, v10 offset:6016                           // 0000000036AC: D86C1780 4C00000A
	ds_read_b32 v77, v10 offset:6080                           // 0000000036B4: D86C17C0 4D00000A
	ds_read_b32 v78, v10 offset:6144                           // 0000000036BC: D86C1800 4E00000A
	ds_read_b32 v79, v10 offset:6208                           // 0000000036C4: D86C1840 4F00000A
	v_mul_f32_e32 v42, v49, v42                                // 0000000036CC: 0A545531
	v_mov_b32_e32 v43, v88                                     // 0000000036D0: 7E560358
	v_add_f32_e32 v43, v89, v43                                // 0000000036D4: 02565759
	v_add_f32_e32 v43, v90, v43                                // 0000000036D8: 0256575A
	v_add_f32_e32 v43, v91, v43                                // 0000000036DC: 0256575B
	v_add_f32_e32 v43, v92, v43                                // 0000000036E0: 0256575C
	v_add_f32_e32 v43, v93, v43                                // 0000000036E4: 0256575D
	v_add_f32_e32 v43, v94, v43                                // 0000000036E8: 0256575E
	v_add_f32_e32 v43, v95, v43                                // 0000000036EC: 0256575F
	v_add_f32_e32 v42, v43, v42                                // 0000000036F0: 0254552B
	s_waitcnt lgkmcnt(0)                                       // 0000000036F4: BF8CC07F
	v_max3_f32 v48, |v64|, |v65|, v48                          // 0000000036F8: D1D30330 04C28340
	v_max3_f32 v48, |v66|, |v67|, v48                          // 000000003700: D1D30330 04C28742
	v_max3_f32 v48, |v68|, |v69|, v48                          // 000000003708: D1D30330 04C28B44
	v_max3_f32 v48, |v70|, |v71|, v48                          // 000000003710: D1D30330 04C28F46
	v_max3_f32 v48, |v72|, |v73|, v48                          // 000000003718: D1D30330 04C29348
	v_max3_f32 v48, |v74|, |v75|, v48                          // 000000003720: D1D30330 04C2974A
	v_max3_f32 v48, |v76|, |v77|, v48                          // 000000003728: D1D30330 04C29B4C
	v_max3_f32 v48, |v78|, |v79|, v48                          // 000000003730: D1D30330 04C29F4E
	s_nop 2                                                    // 000000003738: BF800002
	v_mov_b32_dpp v38, v48 row_ror:8 row_mask:0xf bank_mask:0xf// 00000000373C: 7E4C02FA FF012830
	v_max_f32_e32 v48, v48, v38                                // 000000003744: 16604D30
	v_rcp_f32_e32 v48, v48                                     // 000000003748: 7E604530
	s_nop 1                                                    // 00000000374C: BF800001
	v_mul_f32_e32 v48, 0x42fe0000, v48                         // 000000003750: 0A6060FF 42FE0000
	v_mul_f32_e32 v88, v48, v116                               // 000000003758: 0AB0E930
	v_mul_f32_e32 v89, v48, v117                               // 00000000375C: 0AB2EB30
	v_mul_f32_e32 v90, v48, v118                               // 000000003760: 0AB4ED30
	v_mul_f32_e32 v91, v48, v119                               // 000000003764: 0AB6EF30
	v_mul_f32_e32 v92, v48, v120                               // 000000003768: 0AB8F130
	v_mul_f32_e32 v93, v48, v121                               // 00000000376C: 0ABAF330
	v_mul_f32_e32 v94, v48, v122                               // 000000003770: 0ABCF530
	v_mul_f32_e32 v95, v48, v123                               // 000000003774: 0ABEF730
	v_cvt_i32_f32_e32 v88, v88                                 // 000000003778: 7EB01158
	v_cvt_i32_f32_e32 v89, v89                                 // 00000000377C: 7EB21159
	v_cvt_i32_f32_e32 v90, v90                                 // 000000003780: 7EB4115A
	v_cvt_i32_f32_e32 v91, v91                                 // 000000003784: 7EB6115B
	v_cvt_i32_f32_e32 v92, v92                                 // 000000003788: 7EB8115C
	v_cvt_i32_f32_e32 v93, v93                                 // 00000000378C: 7EBA115D
	v_cvt_i32_f32_e32 v94, v94                                 // 000000003790: 7EBC115E
	v_cvt_i32_f32_e32 v95, v95                                 // 000000003794: 7EBE115F
	v_perm_b32 v88, v89, v88, s53                              // 000000003798: D1ED0058 00D6B159
	v_perm_b32 v88, v90, v88, s54                              // 0000000037A0: D1ED0058 00DAB15A
	v_perm_b32 v88, v91, v88, s55                              // 0000000037A8: D1ED0058 00DEB15B
	v_perm_b32 v89, v93, v92, s53                              // 0000000037B0: D1ED0059 00D6B95D
	v_perm_b32 v89, v94, v89, s54                              // 0000000037B8: D1ED0059 00DAB35E
	v_perm_b32 v89, v95, v89, s55                              // 0000000037C0: D1ED0059 00DEB35F
	ds_write_b32 v13, v88 offset:6272                          // 0000000037C8: D81A1880 0000580D
	ds_write_b32 v13, v89 offset:7296                          // 0000000037D0: D81A1C80 0000590D
	v_cvt_f32_i32_e32 v104, v104                               // 0000000037D8: 7ED00B68
	v_cvt_f32_i32_e32 v105, v105                               // 0000000037DC: 7ED20B69
	v_cvt_f32_i32_e32 v106, v106                               // 0000000037E0: 7ED40B6A
	v_cvt_f32_i32_e32 v107, v107                               // 0000000037E4: 7ED60B6B
	v_mul_f32_e32 v104, v47, v104                              // 0000000037E8: 0AD0D12F
	v_mul_f32_e32 v105, v47, v105                              // 0000000037EC: 0AD2D32F
	v_mul_f32_e32 v106, v47, v106                              // 0000000037F0: 0AD4D52F
	v_mul_f32_e32 v107, v47, v107                              // 0000000037F4: 0AD6D72F
	v_rcp_f32_e32 v47, v48                                     // 0000000037F8: 7E5E4530
	s_waitcnt lgkmcnt(0)                                       // 0000000037FC: BF8CC07F
	s_barrier                                                  // 000000003800: BF8A0000
	ds_read_b64 v[88:89], v12 offset:6272                      // 000000003804: D8EC1880 5800000C
	ds_read_b64 v[90:91], v12 offset:6400                      // 00000000380C: D8EC1900 5A00000C
	ds_read_b64 v[92:93], v12 offset:7296                      // 000000003814: D8EC1C80 5C00000C
	ds_read_b64 v[94:95], v12 offset:7424                      // 00000000381C: D8EC1D00 5E00000C
	v_add_f32_e32 v112, v112, v104                             // 000000003824: 02E0D170
	v_add_f32_e32 v113, v113, v105                             // 000000003828: 02E2D371
	v_add_f32_e32 v114, v114, v106                             // 00000000382C: 02E4D572
	v_add_f32_e32 v115, v115, v107                             // 000000003830: 02E6D773
	s_waitcnt lgkmcnt(3)                                       // 000000003834: BF8CC37F
	v_mov_b32_dpp v96, v88 row_shl:8 row_mask:0xf bank_mask:0xf bound_ctrl:1// 000000003838: 7EC002FA FF090858
	v_and_b32_e32 v88, v88, v9                                 // 000000003840: 26B01358
	v_mov_b32_dpp v97, v89 row_shl:8 row_mask:0xf bank_mask:0xf bound_ctrl:1// 000000003844: 7EC202FA FF090859
	v_and_b32_e32 v89, v89, v9                                 // 00000000384C: 26B21359
	s_waitcnt lgkmcnt(2)                                       // 000000003850: BF8CC27F
	v_mov_b32_dpp v98, v90 row_shl:8 row_mask:0xf bank_mask:0xf bound_ctrl:1// 000000003854: 7EC402FA FF09085A
	v_and_b32_e32 v90, v90, v9                                 // 00000000385C: 26B4135A
	v_mov_b32_dpp v99, v91 row_shl:8 row_mask:0xf bank_mask:0xf bound_ctrl:1// 000000003860: 7EC602FA FF09085B
	v_and_b32_e32 v91, v91, v9                                 // 000000003868: 26B6135B
	s_waitcnt lgkmcnt(1)                                       // 00000000386C: BF8CC17F
	v_mov_b32_dpp v100, v92 row_shl:8 row_mask:0xf bank_mask:0xf bound_ctrl:1// 000000003870: 7EC802FA FF09085C
	v_and_b32_e32 v92, v92, v9                                 // 000000003878: 26B8135C
	v_mov_b32_dpp v101, v93 row_shl:8 row_mask:0xf bank_mask:0xf bound_ctrl:1// 00000000387C: 7ECA02FA FF09085D
	v_and_b32_e32 v93, v93, v9                                 // 000000003884: 26BA135D
	s_waitcnt lgkmcnt(0)                                       // 000000003888: BF8CC07F
	v_mov_b32_dpp v102, v94 row_shl:8 row_mask:0xf bank_mask:0xf bound_ctrl:1// 00000000388C: 7ECC02FA FF09085E
	v_and_b32_e32 v94, v94, v9                                 // 000000003894: 26BC135E
	v_mov_b32_dpp v103, v95 row_shl:8 row_mask:0xf bank_mask:0xf bound_ctrl:1// 000000003898: 7ECE02FA FF09085F
	v_and_b32_e32 v95, v95, v9                                 // 0000000038A0: 26BE135F
	s_waitcnt vmcnt(15)                                        // 0000000038A4: BF8C0F7F
	v_mfma_i32_16x16x32_i8 v[104:107], a[64:65], v[88:89], 0   // 0000000038A8: D3D70068 0A02B140
	buffer_load_dwordx4 a[112:115], v34, s[20:23], 0 offen offset:1024// 0000000038B0: E05C1400 80857022
	v_mfma_i32_16x16x32_i8 v[104:107], a[66:67], v[90:91], v[104:107]// 0000000038B8: D3D70068 0DA2B542
	v_mfma_i32_16x16x32_i8 v[104:107], a[68:69], v[92:93], v[104:107]// 0000000038C0: D3D70068 0DA2B944
	v_mfma_i32_16x16x32_i8 v[104:107], a[70:71], v[94:95], v[104:107]// 0000000038C8: D3D70068 0DA2BD46
	v_mfma_i32_16x16x32_i8 v[104:107], a[72:73], v[96:97], v[104:107]// 0000000038D0: D3D70068 0DA2C148
	buffer_load_dwordx4 a[116:119], v35, s[20:23], 0 offen offset:1024// 0000000038D8: E05C1400 80857423
	v_mfma_i32_16x16x32_i8 v[104:107], a[74:75], v[98:99], v[104:107]// 0000000038E0: D3D70068 0DA2C54A
	v_mfma_i32_16x16x32_i8 v[104:107], a[76:77], v[100:101], v[104:107]// 0000000038E8: D3D70068 0DA2C94C
	v_mfma_i32_16x16x32_i8 v[104:107], a[78:79], v[102:103], v[104:107]// 0000000038F0: D3D70068 0DA2CD4E
	v_mfma_i32_16x16x32_i8 v[108:111], a[80:81], v[88:89], 0   // 0000000038F8: D3D7006C 0A02B150
	buffer_load_dwordx4 a[120:123], v36, s[20:23], 0 offen offset:1024// 000000003900: E05C1400 80857824
	v_mfma_i32_16x16x32_i8 v[108:111], a[82:83], v[90:91], v[108:111]// 000000003908: D3D7006C 0DB2B552
	v_mfma_i32_16x16x32_i8 v[108:111], a[84:85], v[92:93], v[108:111]// 000000003910: D3D7006C 0DB2B954
	v_mfma_i32_16x16x32_i8 v[108:111], a[86:87], v[94:95], v[108:111]// 000000003918: D3D7006C 0DB2BD56
	v_mfma_i32_16x16x32_i8 v[108:111], a[88:89], v[96:97], v[108:111]// 000000003920: D3D7006C 0DB2C158
	buffer_load_dwordx4 a[124:127], v37, s[20:23], 0 offen offset:1024// 000000003928: E05C1400 80857C25
	v_mfma_i32_16x16x32_i8 v[108:111], a[90:91], v[98:99], v[108:111]// 000000003930: D3D7006C 0DB2C55A
	v_mfma_i32_16x16x32_i8 v[108:111], a[92:93], v[100:101], v[108:111]// 000000003938: D3D7006C 0DB2C95C
	s_lshr_b32 s57, s70, 4                                     // 000000003940: 8F398446
	s_add_u32 s57, 48, s57                                     // 000000003944: 803939B0
	v_mfma_i32_16x16x32_i8 v[108:111], a[94:95], v[102:103], v[108:111]// 000000003948: D3D7006C 0DB2CD5E
	s_cmp_ge_u32 s57, s73                                      // 000000003950: BF094939
	s_cselect_b32 s56, 0, s56                                  // 000000003954: 85383880
	v_add_u32_e32 v1, s56, v1                                  // 000000003958: 68020238
	s_addk_i32 s70, 0x100                                      // 00000000395C: B7460100
	s_cmp_lt_i32 s70, s71                                      // 000000003960: BF044746
	s_cbranch_scc0 label_05E5                                  // 000000003964: BF84FE0B
	s_waitcnt vmcnt(8) lgkmcnt(0)                              // 000000003968: BF8C0078
	v_mul_u32_u24_dpp v38, v16, v51 row_newbcast:0 row_mask:0xf bank_mask:0xf// 00000000396C: 104C66FA FF015010
	v_mul_u32_u24_dpp v39, v16, v51 row_newbcast:4 row_mask:0xf bank_mask:0xf// 000000003974: 104E66FA FF015410
	v_mul_u32_u24_dpp v40, v16, v51 row_newbcast:8 row_mask:0xf bank_mask:0xf// 00000000397C: 105066FA FF015810
	v_mul_u32_u24_dpp v41, v16, v51 row_newbcast:12 row_mask:0xf bank_mask:0xf// 000000003984: 105266FA FF015C10
	v_add_u32_e32 v22, v38, v6                                 // 00000000398C: 682C0D26
	v_add_u32_e32 v23, v39, v6                                 // 000000003990: 682E0D27
	v_add_u32_e32 v24, v40, v6                                 // 000000003994: 68300D28
	v_add_u32_e32 v25, v41, v6                                 // 000000003998: 68320D29
	v_mul_u32_u24_dpp v38, v16, v61 quad_perm:[0,0,0,0] row_mask:0xf bank_mask:0xf// 00000000399C: 104C7AFA FF000010
	v_add_u32_e32 v2, v38, v57                                 // 0000000039A4: 68047326
	v_mul_u32_u24_dpp v38, v16, v61 quad_perm:[0,0,0,0] row_mask:0xf bank_mask:0xf// 0000000039A8: 104C7AFA FF000010
	v_add_u32_e32 v53, v38, v58                                // 0000000039B0: 686A7526
	v_mfma_i32_16x16x32_i8 v[88:91], a[32:33], v[80:81], 0     // 0000000039B4: D3D70058 0A02A120
	buffer_load_dwordx4 a[0:3], v22, s[16:19], 0 offen         // 0000000039BC: E05C1000 80840016
	v_mfma_i32_16x16x32_i8 v[88:91], a[34:35], v[82:83], v[88:91]// 0000000039C4: D3D70058 0D62A522
	v_mfma_i32_16x16x32_i8 v[88:91], a[36:37], v[84:85], v[88:91]// 0000000039CC: D3D70058 0D62A924
	buffer_load_dword v17, v1, s[24:27], 0 offen               // 0000000039D4: E0501000 80061101
	v_mfma_i32_16x16x32_i8 v[88:91], a[38:39], v[86:87], v[88:91]// 0000000039DC: D3D70058 0D62AD26
	v_mfma_i32_16x16x32_i8 v[92:95], a[40:41], v[80:81], 0     // 0000000039E4: D3D7005C 0A02A128
	buffer_load_dwordx4 a[4:7], v22, s[16:19], 0 offen offset:1024// 0000000039EC: E05C1400 80840416
	v_mfma_i32_16x16x32_i8 v[92:95], a[42:43], v[82:83], v[92:95]// 0000000039F4: D3D7005C 0D72A52A
	v_mfma_i32_16x16x32_i8 v[92:95], a[44:45], v[84:85], v[92:95]// 0000000039FC: D3D7005C 0D72A92C
	v_mfma_i32_16x16x32_i8 v[92:95], a[46:47], v[86:87], v[92:95]// 000000003A04: D3D7005C 0D72AD2E
	v_mfma_i32_16x16x32_i8 v[96:99], a[48:49], v[80:81], 0     // 000000003A0C: D3D70060 0A02A130
	buffer_load_dwordx4 a[8:11], v23, s[16:19], 0 offen        // 000000003A14: E05C1000 80840817
	v_mfma_i32_16x16x32_i8 v[96:99], a[50:51], v[82:83], v[96:99]// 000000003A1C: D3D70060 0D82A532
	v_mfma_i32_16x16x32_i8 v[96:99], a[52:53], v[84:85], v[96:99]// 000000003A24: D3D70060 0D82A934
	v_mfma_i32_16x16x32_i8 v[96:99], a[54:55], v[86:87], v[96:99]// 000000003A2C: D3D70060 0D82AD36
	v_mfma_i32_16x16x32_i8 v[100:103], a[56:57], v[80:81], 0   // 000000003A34: D3D70064 0A02A138
	buffer_load_dwordx4 a[12:15], v23, s[16:19], 0 offen offset:1024// 000000003A3C: E05C1400 80840C17
	v_mfma_i32_16x16x32_i8 v[100:103], a[58:59], v[82:83], v[100:103]// 000000003A44: D3D70064 0D92A53A
	v_mfma_i32_16x16x32_i8 v[100:103], a[60:61], v[84:85], v[100:103]// 000000003A4C: D3D70064 0D92A93C
	v_mfma_i32_16x16x32_i8 v[100:103], a[62:63], v[86:87], v[100:103]// 000000003A54: D3D70064 0D92AD3E
	buffer_load_dword v44, v2, s[32:35], 0 offen               // 000000003A5C: E0501000 80082C02
	v_mov_b32_dpp v38, v45 row_shr:4 row_mask:0xf bank_mask:0xf// 000000003A64: 7E4C02FA FF01142D
	v_mov_b32_dpp v39, v45 row_shl:4 row_mask:0xf bank_mask:0xf// 000000003A6C: 7E4E02FA FF01042D
	v_cndmask_b32_e64 v124, v45, v38, s[44:45]                 // 000000003A74: D100007C 00B24D2D
	v_cndmask_b32_e64 v125, v39, v45, s[44:45]                 // 000000003A7C: D100007D 00B25B27
	v_mov_b32_dpp v38, v56 row_shr:4 row_mask:0xf bank_mask:0xf// 000000003A84: 7E4C02FA FF011438
	v_mov_b32_dpp v39, v56 row_shl:4 row_mask:0xf bank_mask:0xf// 000000003A8C: 7E4E02FA FF010438
	v_cndmask_b32_e64 v126, v56, v38, s[44:45]                 // 000000003A94: D100007E 00B24D38
	v_cndmask_b32_e64 v127, v39, v56, s[44:45]                 // 000000003A9C: D100007F 00B27127
	v_or_b32_dpp v88, v96, v88 row_shr:8 row_mask:0xf bank_mask:0xf bound_ctrl:1// 000000003AA4: 28B0B0FA FF091860
	v_or_b32_dpp v89, v97, v89 row_shr:8 row_mask:0xf bank_mask:0xf bound_ctrl:1// 000000003AAC: 28B2B2FA FF091861
	v_or_b32_dpp v90, v98, v90 row_shr:8 row_mask:0xf bank_mask:0xf bound_ctrl:1// 000000003AB4: 28B4B4FA FF091862
	v_or_b32_dpp v91, v99, v91 row_shr:8 row_mask:0xf bank_mask:0xf bound_ctrl:1// 000000003ABC: 28B6B6FA FF091863
	v_or_b32_dpp v92, v100, v92 row_shr:8 row_mask:0xf bank_mask:0xf bound_ctrl:1// 000000003AC4: 28B8B8FA FF091864
	v_or_b32_dpp v93, v101, v93 row_shr:8 row_mask:0xf bank_mask:0xf bound_ctrl:1// 000000003ACC: 28BABAFA FF091865
	v_or_b32_dpp v94, v102, v94 row_shr:8 row_mask:0xf bank_mask:0xf bound_ctrl:1// 000000003AD4: 28BCBCFA FF091866
	v_or_b32_dpp v95, v103, v95 row_shr:8 row_mask:0xf bank_mask:0xf bound_ctrl:1// 000000003ADC: 28BEBEFA FF091867
	buffer_load_dword v55, v53, s[36:39], 0 offen              // 000000003AE4: E0501000 80093735
	v_cvt_f32_i32_e32 v88, v88                                 // 000000003AEC: 7EB00B58
	v_cvt_f32_i32_e32 v89, v89                                 // 000000003AF0: 7EB20B59
	v_cvt_f32_i32_e32 v90, v90                                 // 000000003AF4: 7EB40B5A
	v_cvt_f32_i32_e32 v91, v91                                 // 000000003AF8: 7EB60B5B
	v_cvt_f32_i32_e32 v92, v92                                 // 000000003AFC: 7EB80B5C
	v_cvt_f32_i32_e32 v93, v93                                 // 000000003B00: 7EBA0B5D
	v_cvt_f32_i32_e32 v94, v94                                 // 000000003B04: 7EBC0B5E
	v_cvt_f32_i32_e32 v95, v95                                 // 000000003B08: 7EBE0B5F
	v_mul_f32_e32 v88, v46, v88                                // 000000003B0C: 0AB0B12E
	v_mul_f32_e32 v89, v46, v89                                // 000000003B10: 0AB2B32E
	v_mul_f32_e32 v90, v46, v90                                // 000000003B14: 0AB4B52E
	v_mul_f32_e32 v91, v46, v91                                // 000000003B18: 0AB6B72E
	v_mul_f32_e32 v92, v46, v92                                // 000000003B1C: 0AB8B92E
	v_mul_f32_e32 v93, v46, v93                                // 000000003B20: 0ABABB2E
	v_mul_f32_e32 v94, v46, v94                                // 000000003B24: 0ABCBD2E
	v_mul_f32_e32 v95, v46, v95                                // 000000003B28: 0ABEBF2E
	buffer_load_dwordx4 a[16:19], v24, s[16:19], 0 offen       // 000000003B2C: E05C1000 80841018
	v_mul_f32_dpp v88, v124, v88 quad_perm:[0,0,0,0] row_mask:0xf bank_mask:0xf// 000000003B34: 0AB0B0FA FF00007C
	v_mul_f32_dpp v89, v124, v89 quad_perm:[1,1,1,1] row_mask:0xf bank_mask:0xf// 000000003B3C: 0AB2B2FA FF00557C
	v_mul_f32_dpp v90, v124, v90 quad_perm:[2,2,2,2] row_mask:0xf bank_mask:0xf// 000000003B44: 0AB4B4FA FF00AA7C
	v_mul_f32_dpp v91, v124, v91 quad_perm:[3,3,3,3] row_mask:0xf bank_mask:0xf// 000000003B4C: 0AB6B6FA FF00FF7C
	v_mul_f32_dpp v92, v125, v92 quad_perm:[0,0,0,0] row_mask:0xf bank_mask:0xf// 000000003B54: 0AB8B8FA FF00007D
	v_mul_f32_dpp v93, v125, v93 quad_perm:[1,1,1,1] row_mask:0xf bank_mask:0xf// 000000003B5C: 0ABABAFA FF00557D
	v_mul_f32_dpp v94, v125, v94 quad_perm:[2,2,2,2] row_mask:0xf bank_mask:0xf// 000000003B64: 0ABCBCFA FF00AA7D
	v_mul_f32_dpp v95, v125, v95 quad_perm:[3,3,3,3] row_mask:0xf bank_mask:0xf// 000000003B6C: 0ABEBEFA FF00FF7D
	buffer_load_dwordx4 a[20:23], v24, s[16:19], 0 offen offset:1024// 000000003B74: E05C1400 80841418
	v_mov_b32_e32 v48, v88                                     // 000000003B7C: 7E600358
	v_max3_f32 v48, v88, v89, v48                              // 000000003B80: D1D30030 04C2B358
	v_max3_f32 v48, v90, v91, v48                              // 000000003B88: D1D30030 04C2B75A
	v_max3_f32 v48, v92, v93, v48                              // 000000003B90: D1D30030 04C2BB5C
	v_max3_f32 v48, v94, v95, v48                              // 000000003B98: D1D30030 04C2BF5E
	ds_write_b32 v11, v48 offset:4224                          // 000000003BA0: D81A1080 0000300B
	buffer_load_dwordx4 a[24:27], v25, s[16:19], 0 offen       // 000000003BA8: E05C1000 80841819
	v_mul_u32_u24_dpp v38, v16, v51 row_newbcast:1 row_mask:0xf bank_mask:0xf// 000000003BB0: 104C66FA FF015110
	v_mul_u32_u24_dpp v39, v16, v51 row_newbcast:5 row_mask:0xf bank_mask:0xf// 000000003BB8: 104E66FA FF015510
	v_mul_u32_u24_dpp v40, v16, v51 row_newbcast:9 row_mask:0xf bank_mask:0xf// 000000003BC0: 105066FA FF015910
	v_mul_u32_u24_dpp v41, v16, v51 row_newbcast:13 row_mask:0xf bank_mask:0xf// 000000003BC8: 105266FA FF015D10
	v_add_u32_e32 v30, v38, v7                                 // 000000003BD0: 683C0F26
	v_add_u32_e32 v31, v39, v7                                 // 000000003BD4: 683E0F27
	v_add_u32_e32 v32, v40, v7                                 // 000000003BD8: 68400F28
	v_add_u32_e32 v33, v41, v7                                 // 000000003BDC: 68420F29
	s_waitcnt lgkmcnt(0)                                       // 000000003BE0: BF8CC07F
	s_barrier                                                  // 000000003BE4: BF8A0000
	ds_read_b32 v64, v10 offset:4224                           // 000000003BE8: D86C1080 4000000A
	ds_read_b32 v65, v10 offset:4288                           // 000000003BF0: D86C10C0 4100000A
	ds_read_b32 v66, v10 offset:4352                           // 000000003BF8: D86C1100 4200000A
	ds_read_b32 v67, v10 offset:4416                           // 000000003C00: D86C1140 4300000A
	ds_read_b32 v68, v10 offset:4480                           // 000000003C08: D86C1180 4400000A
	ds_read_b32 v69, v10 offset:4544                           // 000000003C10: D86C11C0 4500000A
	ds_read_b32 v70, v10 offset:4608                           // 000000003C18: D86C1200 4600000A
	ds_read_b32 v71, v10 offset:4672                           // 000000003C20: D86C1240 4700000A
	ds_read_b32 v72, v10 offset:4736                           // 000000003C28: D86C1280 4800000A
	ds_read_b32 v73, v10 offset:4800                           // 000000003C30: D86C12C0 4900000A
	ds_read_b32 v74, v10 offset:4864                           // 000000003C38: D86C1300 4A00000A
	ds_read_b32 v75, v10 offset:4928                           // 000000003C40: D86C1340 4B00000A
	ds_read_b32 v76, v10 offset:4992                           // 000000003C48: D86C1380 4C00000A
	ds_read_b32 v77, v10 offset:5056                           // 000000003C50: D86C13C0 4D00000A
	ds_read_b32 v78, v10 offset:5120                           // 000000003C58: D86C1400 4E00000A
	ds_read_b32 v79, v10 offset:5184                           // 000000003C60: D86C1440 4F00000A
	buffer_load_dwordx4 a[28:31], v25, s[16:19], 0 offen offset:1024// 000000003C68: E05C1400 80841C19
	v_mul_f32_e32 v112, v49, v112                              // 000000003C70: 0AE0E131
	v_mul_f32_e32 v113, v49, v113                              // 000000003C74: 0AE2E331
	v_mul_f32_e32 v114, v49, v114                              // 000000003C78: 0AE4E531
	v_mul_f32_e32 v115, v49, v115                              // 000000003C7C: 0AE6E731
	v_or_b32_dpp v104, v108, v104 row_shr:8 row_mask:0xf bank_mask:0xf bound_ctrl:1// 000000003C80: 28D0D0FA FF09186C
	v_or_b32_dpp v105, v109, v105 row_shr:8 row_mask:0xf bank_mask:0xf bound_ctrl:1// 000000003C88: 28D2D2FA FF09186D
	v_or_b32_dpp v106, v110, v106 row_shr:8 row_mask:0xf bank_mask:0xf bound_ctrl:1// 000000003C90: 28D4D4FA FF09186E
	v_or_b32_dpp v107, v111, v107 row_shr:8 row_mask:0xf bank_mask:0xf bound_ctrl:1// 000000003C98: 28D6D6FA FF09186F
	s_waitcnt lgkmcnt(0)                                       // 000000003CA0: BF8CC07F
	v_max3_f32 v48, v64, v65, v48                              // 000000003CA4: D1D30030 04C28340
	v_max3_f32 v48, v66, v67, v48                              // 000000003CAC: D1D30030 04C28742
	v_max3_f32 v48, v68, v69, v48                              // 000000003CB4: D1D30030 04C28B44
	v_max3_f32 v48, v70, v71, v48                              // 000000003CBC: D1D30030 04C28F46
	v_max3_f32 v48, v72, v73, v48                              // 000000003CC4: D1D30030 04C29348
	v_max3_f32 v48, v74, v75, v48                              // 000000003CCC: D1D30030 04C2974A
	v_max3_f32 v48, v76, v77, v48                              // 000000003CD4: D1D30030 04C29B4C
	v_max3_f32 v48, v78, v79, v48                              // 000000003CDC: D1D30030 04C29F4E
	buffer_load_dwordx4 a[64:67], v30, s[20:23], 0 offen       // 000000003CE4: E05C1000 8085401E
	v_cmp_eq_u32_e64 s[40:41], v52, v14                        // 000000003CEC: D0CA0028 00021D34
	s_nop 1                                                    // 000000003CF4: BF800001
	v_mov_b32_dpp v38, v48 row_ror:8 row_mask:0xf bank_mask:0xf// 000000003CF8: 7E4C02FA FF012830
	v_max_f32_e32 v48, v48, v38                                // 000000003D00: 16604D30
	v_max_f32_e32 v15, v48, v14                                // 000000003D04: 161E1D30
	v_mul_f32_e32 v50, s64, v15                                // 000000003D08: 0A641E40
	v_fma_f32 v88, v88, s64, -v50                              // 000000003D0C: D1CB0058 84C88158
	v_fma_f32 v89, v89, s64, -v50                              // 000000003D14: D1CB0059 84C88159
	v_fma_f32 v90, v90, s64, -v50                              // 000000003D1C: D1CB005A 84C8815A
	v_fma_f32 v91, v91, s64, -v50                              // 000000003D24: D1CB005B 84C8815B
	v_fma_f32 v92, v92, s64, -v50                              // 000000003D2C: D1CB005C 84C8815C
	v_fma_f32 v93, v93, s64, -v50                              // 000000003D34: D1CB005D 84C8815D
	v_fma_f32 v94, v94, s64, -v50                              // 000000003D3C: D1CB005E 84C8815E
	v_fma_f32 v95, v95, s64, -v50                              // 000000003D44: D1CB005F 84C8815F
	buffer_load_dwordx4 a[68:71], v31, s[20:23], 0 offen       // 000000003D4C: E05C1000 8085441F
	v_exp_f32_e32 v88, v88                                     // 000000003D54: 7EB04158
	v_exp_f32_e32 v89, v89                                     // 000000003D58: 7EB24159
	v_exp_f32_e32 v90, v90                                     // 000000003D5C: 7EB4415A
	v_exp_f32_e32 v91, v91                                     // 000000003D60: 7EB6415B
	v_exp_f32_e32 v92, v92                                     // 000000003D64: 7EB8415C
	v_exp_f32_e32 v93, v93                                     // 000000003D68: 7EBA415D
	v_exp_f32_e32 v94, v94                                     // 000000003D6C: 7EBC415E
	v_exp_f32_e32 v95, v95                                     // 000000003D70: 7EBE415F
	buffer_load_dwordx4 a[72:75], v32, s[20:23], 0 offen       // 000000003D74: E05C1000 80854820
	v_mul_f32_dpp v116, v126, v88 quad_perm:[0,0,0,0] row_mask:0xf bank_mask:0xf// 000000003D7C: 0AE8B0FA FF00007E
	v_mul_f32_dpp v117, v126, v89 quad_perm:[1,1,1,1] row_mask:0xf bank_mask:0xf// 000000003D84: 0AEAB2FA FF00557E
	v_mul_f32_dpp v118, v126, v90 quad_perm:[2,2,2,2] row_mask:0xf bank_mask:0xf// 000000003D8C: 0AECB4FA FF00AA7E
	v_mul_f32_dpp v119, v126, v91 quad_perm:[3,3,3,3] row_mask:0xf bank_mask:0xf// 000000003D94: 0AEEB6FA FF00FF7E
	v_mul_f32_dpp v120, v127, v92 quad_perm:[0,0,0,0] row_mask:0xf bank_mask:0xf// 000000003D9C: 0AF0B8FA FF00007F
	v_mul_f32_dpp v121, v127, v93 quad_perm:[1,1,1,1] row_mask:0xf bank_mask:0xf// 000000003DA4: 0AF2BAFA FF00557F
	v_mul_f32_dpp v122, v127, v94 quad_perm:[2,2,2,2] row_mask:0xf bank_mask:0xf// 000000003DAC: 0AF4BCFA FF00AA7F
	v_mul_f32_dpp v123, v127, v95 quad_perm:[3,3,3,3] row_mask:0xf bank_mask:0xf// 000000003DB4: 0AF6BEFA FF00FF7F
	v_mov_b32_e32 v48, 0x358637bd                              // 000000003DBC: 7E6002FF 358637BD
	v_max3_f32 v48, |v116|, |v117|, v48                        // 000000003DC4: D1D30330 04C2EB74
	v_max3_f32 v48, |v118|, |v119|, v48                        // 000000003DCC: D1D30330 04C2EF76
	v_max3_f32 v48, |v120|, |v121|, v48                        // 000000003DD4: D1D30330 04C2F378
	v_max3_f32 v48, |v122|, |v123|, v48                        // 000000003DDC: D1D30330 04C2F77A
	buffer_load_dwordx4 a[76:79], v33, s[20:23], 0 offen       // 000000003DE4: E05C1000 80854C21
	ds_write_b32 v11, v48 offset:5248                          // 000000003DEC: D81A1480 0000300B
	v_sub_f32_e32 v49, v14, v15                                // 000000003DF4: 04621F0E
	v_cndmask_b32_e64 v49, v49, 0, s[40:41]                    // 000000003DF8: D1000031 00A10131
	v_mov_b32_e32 v14, v15                                     // 000000003E00: 7E1C030F
	v_mul_f32_e32 v49, s64, v49                                // 000000003E04: 0A626240
	v_exp_f32_e32 v49, v49                                     // 000000003E08: 7E624131
	s_waitcnt lgkmcnt(0)                                       // 000000003E0C: BF8CC07F
	s_barrier                                                  // 000000003E10: BF8A0000
	ds_read_b32 v64, v10 offset:5248                           // 000000003E14: D86C1480 4000000A
	ds_read_b32 v65, v10 offset:5312                           // 000000003E1C: D86C14C0 4100000A
	ds_read_b32 v66, v10 offset:5376                           // 000000003E24: D86C1500 4200000A
	ds_read_b32 v67, v10 offset:5440                           // 000000003E2C: D86C1540 4300000A
	ds_read_b32 v68, v10 offset:5504                           // 000000003E34: D86C1580 4400000A
	ds_read_b32 v69, v10 offset:5568                           // 000000003E3C: D86C15C0 4500000A
	ds_read_b32 v70, v10 offset:5632                           // 000000003E44: D86C1600 4600000A
	ds_read_b32 v71, v10 offset:5696                           // 000000003E4C: D86C1640 4700000A
	ds_read_b32 v72, v10 offset:5760                           // 000000003E54: D86C1680 4800000A
	ds_read_b32 v73, v10 offset:5824                           // 000000003E5C: D86C16C0 4900000A
	ds_read_b32 v74, v10 offset:5888                           // 000000003E64: D86C1700 4A00000A
	ds_read_b32 v75, v10 offset:5952                           // 000000003E6C: D86C1740 4B00000A
	ds_read_b32 v76, v10 offset:6016                           // 000000003E74: D86C1780 4C00000A
	ds_read_b32 v77, v10 offset:6080                           // 000000003E7C: D86C17C0 4D00000A
	ds_read_b32 v78, v10 offset:6144                           // 000000003E84: D86C1800 4E00000A
	ds_read_b32 v79, v10 offset:6208                           // 000000003E8C: D86C1840 4F00000A
	v_mul_f32_e32 v42, v49, v42                                // 000000003E94: 0A545531
	v_mov_b32_e32 v43, v88                                     // 000000003E98: 7E560358
	v_add_f32_e32 v43, v89, v43                                // 000000003E9C: 02565759
	v_add_f32_e32 v43, v90, v43                                // 000000003EA0: 0256575A
	v_add_f32_e32 v43, v91, v43                                // 000000003EA4: 0256575B
	v_add_f32_e32 v43, v92, v43                                // 000000003EA8: 0256575C
	v_add_f32_e32 v43, v93, v43                                // 000000003EAC: 0256575D
	v_add_f32_e32 v43, v94, v43                                // 000000003EB0: 0256575E
	v_add_f32_e32 v43, v95, v43                                // 000000003EB4: 0256575F
	v_add_f32_e32 v42, v43, v42                                // 000000003EB8: 0254552B
	s_waitcnt lgkmcnt(0)                                       // 000000003EBC: BF8CC07F
	v_max3_f32 v48, |v64|, |v65|, v48                          // 000000003EC0: D1D30330 04C28340
	v_max3_f32 v48, |v66|, |v67|, v48                          // 000000003EC8: D1D30330 04C28742
	v_max3_f32 v48, |v68|, |v69|, v48                          // 000000003ED0: D1D30330 04C28B44
	v_max3_f32 v48, |v70|, |v71|, v48                          // 000000003ED8: D1D30330 04C28F46
	v_max3_f32 v48, |v72|, |v73|, v48                          // 000000003EE0: D1D30330 04C29348
	v_max3_f32 v48, |v74|, |v75|, v48                          // 000000003EE8: D1D30330 04C2974A
	v_max3_f32 v48, |v76|, |v77|, v48                          // 000000003EF0: D1D30330 04C29B4C
	v_max3_f32 v48, |v78|, |v79|, v48                          // 000000003EF8: D1D30330 04C29F4E
	s_nop 2                                                    // 000000003F00: BF800002
	v_mov_b32_dpp v38, v48 row_ror:8 row_mask:0xf bank_mask:0xf// 000000003F04: 7E4C02FA FF012830
	v_max_f32_e32 v48, v48, v38                                // 000000003F0C: 16604D30
	v_rcp_f32_e32 v48, v48                                     // 000000003F10: 7E604530
	s_nop 1                                                    // 000000003F14: BF800001
	v_mul_f32_e32 v48, 0x42fe0000, v48                         // 000000003F18: 0A6060FF 42FE0000
	v_mul_f32_e32 v88, v48, v116                               // 000000003F20: 0AB0E930
	v_mul_f32_e32 v89, v48, v117                               // 000000003F24: 0AB2EB30
	v_mul_f32_e32 v90, v48, v118                               // 000000003F28: 0AB4ED30
	v_mul_f32_e32 v91, v48, v119                               // 000000003F2C: 0AB6EF30
	v_mul_f32_e32 v92, v48, v120                               // 000000003F30: 0AB8F130
	v_mul_f32_e32 v93, v48, v121                               // 000000003F34: 0ABAF330
	v_mul_f32_e32 v94, v48, v122                               // 000000003F38: 0ABCF530
	v_mul_f32_e32 v95, v48, v123                               // 000000003F3C: 0ABEF730
	v_cvt_i32_f32_e32 v88, v88                                 // 000000003F40: 7EB01158
	v_cvt_i32_f32_e32 v89, v89                                 // 000000003F44: 7EB21159
	v_cvt_i32_f32_e32 v90, v90                                 // 000000003F48: 7EB4115A
	v_cvt_i32_f32_e32 v91, v91                                 // 000000003F4C: 7EB6115B
	v_cvt_i32_f32_e32 v92, v92                                 // 000000003F50: 7EB8115C
	v_cvt_i32_f32_e32 v93, v93                                 // 000000003F54: 7EBA115D
	v_cvt_i32_f32_e32 v94, v94                                 // 000000003F58: 7EBC115E
	v_cvt_i32_f32_e32 v95, v95                                 // 000000003F5C: 7EBE115F
	v_perm_b32 v88, v89, v88, s53                              // 000000003F60: D1ED0058 00D6B159
	v_perm_b32 v88, v90, v88, s54                              // 000000003F68: D1ED0058 00DAB15A
	v_perm_b32 v88, v91, v88, s55                              // 000000003F70: D1ED0058 00DEB15B
	v_perm_b32 v89, v93, v92, s53                              // 000000003F78: D1ED0059 00D6B95D
	v_perm_b32 v89, v94, v89, s54                              // 000000003F80: D1ED0059 00DAB35E
	v_perm_b32 v89, v95, v89, s55                              // 000000003F88: D1ED0059 00DEB35F
	ds_write_b32 v13, v88 offset:6272                          // 000000003F90: D81A1880 0000580D
	ds_write_b32 v13, v89 offset:7296                          // 000000003F98: D81A1C80 0000590D
	v_cvt_f32_i32_e32 v104, v104                               // 000000003FA0: 7ED00B68
	v_cvt_f32_i32_e32 v105, v105                               // 000000003FA4: 7ED20B69
	v_cvt_f32_i32_e32 v106, v106                               // 000000003FA8: 7ED40B6A
	v_cvt_f32_i32_e32 v107, v107                               // 000000003FAC: 7ED60B6B
	v_mul_f32_e32 v104, v47, v104                              // 000000003FB0: 0AD0D12F
	v_mul_f32_e32 v105, v47, v105                              // 000000003FB4: 0AD2D32F
	v_mul_f32_e32 v106, v47, v106                              // 000000003FB8: 0AD4D52F
	v_mul_f32_e32 v107, v47, v107                              // 000000003FBC: 0AD6D72F
	v_rcp_f32_e32 v47, v48                                     // 000000003FC0: 7E5E4530
	s_waitcnt lgkmcnt(0)                                       // 000000003FC4: BF8CC07F
	s_barrier                                                  // 000000003FC8: BF8A0000
	ds_read_b64 v[88:89], v12 offset:6272                      // 000000003FCC: D8EC1880 5800000C
	ds_read_b64 v[90:91], v12 offset:6400                      // 000000003FD4: D8EC1900 5A00000C
	ds_read_b64 v[92:93], v12 offset:7296                      // 000000003FDC: D8EC1C80 5C00000C
	ds_read_b64 v[94:95], v12 offset:7424                      // 000000003FE4: D8EC1D00 5E00000C
	v_add_f32_e32 v112, v112, v104                             // 000000003FEC: 02E0D170
	v_add_f32_e32 v113, v113, v105                             // 000000003FF0: 02E2D371
	v_add_f32_e32 v114, v114, v106                             // 000000003FF4: 02E4D572
	v_add_f32_e32 v115, v115, v107                             // 000000003FF8: 02E6D773
	s_waitcnt lgkmcnt(3)                                       // 000000003FFC: BF8CC37F
	v_mov_b32_dpp v96, v88 row_shl:8 row_mask:0xf bank_mask:0xf bound_ctrl:1// 000000004000: 7EC002FA FF090858
	v_and_b32_e32 v88, v88, v9                                 // 000000004008: 26B01358
	v_mov_b32_dpp v97, v89 row_shl:8 row_mask:0xf bank_mask:0xf bound_ctrl:1// 00000000400C: 7EC202FA FF090859
	v_and_b32_e32 v89, v89, v9                                 // 000000004014: 26B21359
	s_waitcnt lgkmcnt(2)                                       // 000000004018: BF8CC27F
	v_mov_b32_dpp v98, v90 row_shl:8 row_mask:0xf bank_mask:0xf bound_ctrl:1// 00000000401C: 7EC402FA FF09085A
	v_and_b32_e32 v90, v90, v9                                 // 000000004024: 26B4135A
	v_mov_b32_dpp v99, v91 row_shl:8 row_mask:0xf bank_mask:0xf bound_ctrl:1// 000000004028: 7EC602FA FF09085B
	v_and_b32_e32 v91, v91, v9                                 // 000000004030: 26B6135B
	s_waitcnt lgkmcnt(1)                                       // 000000004034: BF8CC17F
	v_mov_b32_dpp v100, v92 row_shl:8 row_mask:0xf bank_mask:0xf bound_ctrl:1// 000000004038: 7EC802FA FF09085C
	v_and_b32_e32 v92, v92, v9                                 // 000000004040: 26B8135C
	v_mov_b32_dpp v101, v93 row_shl:8 row_mask:0xf bank_mask:0xf bound_ctrl:1// 000000004044: 7ECA02FA FF09085D
	v_and_b32_e32 v93, v93, v9                                 // 00000000404C: 26BA135D
	s_waitcnt lgkmcnt(0)                                       // 000000004050: BF8CC07F
	v_mov_b32_dpp v102, v94 row_shl:8 row_mask:0xf bank_mask:0xf bound_ctrl:1// 000000004054: 7ECC02FA FF09085E
	v_and_b32_e32 v94, v94, v9                                 // 00000000405C: 26BC135E
	v_mov_b32_dpp v103, v95 row_shl:8 row_mask:0xf bank_mask:0xf bound_ctrl:1// 000000004060: 7ECE02FA FF09085F
	v_and_b32_e32 v95, v95, v9                                 // 000000004068: 26BE135F
	s_waitcnt vmcnt(15)                                        // 00000000406C: BF8C0F7F
	v_mfma_i32_16x16x32_i8 v[104:107], a[96:97], v[88:89], 0   // 000000004070: D3D70068 0A02B160
	buffer_load_dwordx4 a[80:83], v30, s[20:23], 0 offen offset:1024// 000000004078: E05C1400 8085501E
	v_mfma_i32_16x16x32_i8 v[104:107], a[98:99], v[90:91], v[104:107]// 000000004080: D3D70068 0DA2B562
	v_mfma_i32_16x16x32_i8 v[104:107], a[100:101], v[92:93], v[104:107]// 000000004088: D3D70068 0DA2B964
	v_mfma_i32_16x16x32_i8 v[104:107], a[102:103], v[94:95], v[104:107]// 000000004090: D3D70068 0DA2BD66
	v_mfma_i32_16x16x32_i8 v[104:107], a[104:105], v[96:97], v[104:107]// 000000004098: D3D70068 0DA2C168
	buffer_load_dwordx4 a[84:87], v31, s[20:23], 0 offen offset:1024// 0000000040A0: E05C1400 8085541F
	v_mfma_i32_16x16x32_i8 v[104:107], a[106:107], v[98:99], v[104:107]// 0000000040A8: D3D70068 0DA2C56A
	v_mfma_i32_16x16x32_i8 v[104:107], a[108:109], v[100:101], v[104:107]// 0000000040B0: D3D70068 0DA2C96C
	v_mfma_i32_16x16x32_i8 v[104:107], a[110:111], v[102:103], v[104:107]// 0000000040B8: D3D70068 0DA2CD6E
	v_mfma_i32_16x16x32_i8 v[108:111], a[112:113], v[88:89], 0 // 0000000040C0: D3D7006C 0A02B170
	buffer_load_dwordx4 a[88:91], v32, s[20:23], 0 offen offset:1024// 0000000040C8: E05C1400 80855820
	v_mfma_i32_16x16x32_i8 v[108:111], a[114:115], v[90:91], v[108:111]// 0000000040D0: D3D7006C 0DB2B572
	v_mfma_i32_16x16x32_i8 v[108:111], a[116:117], v[92:93], v[108:111]// 0000000040D8: D3D7006C 0DB2B974
	v_mfma_i32_16x16x32_i8 v[108:111], a[118:119], v[94:95], v[108:111]// 0000000040E0: D3D7006C 0DB2BD76
	v_mfma_i32_16x16x32_i8 v[108:111], a[120:121], v[96:97], v[108:111]// 0000000040E8: D3D7006C 0DB2C178
	buffer_load_dwordx4 a[92:95], v33, s[20:23], 0 offen offset:1024// 0000000040F0: E05C1400 80855C21
	v_mfma_i32_16x16x32_i8 v[108:111], a[122:123], v[98:99], v[108:111]// 0000000040F8: D3D7006C 0DB2C57A
	v_mfma_i32_16x16x32_i8 v[108:111], a[124:125], v[100:101], v[108:111]// 000000004100: D3D7006C 0DB2C97C
	s_lshr_b32 s57, s70, 4                                     // 000000004108: 8F398446
	s_add_u32 s57, 48, s57                                     // 00000000410C: 803939B0
	v_mfma_i32_16x16x32_i8 v[108:111], a[126:127], v[102:103], v[108:111]// 000000004110: D3D7006C 0DB2CD7E
	s_cmp_ge_u32 s57, s73                                      // 000000004118: BF094939
	s_cselect_b32 s56, 0, s56                                  // 00000000411C: 85383880
	v_add_u32_e32 v1, s56, v1                                  // 000000004120: 68020238
	s_addk_i32 s70, 0x100                                      // 000000004124: B7460100
	s_cmp_lt_i32 s70, s71                                      // 000000004128: BF044746
	s_cbranch_scc0 label_05E5                                  // 00000000412C: BF84FC19
	s_branch label_05E8                                        // 000000004130: BF82FC1B

0000000000004134 <label_09CD>:
	s_lshr_b32 s60, s71, 4                                     // 000000004134: 8F3C8447
	s_cmp_eq_i32 s60, s73                                      // 000000004138: BF00493C
	s_cbranch_scc1 label_0DBE                                  // 00000000413C: BF8503EE
	s_lshr_b32 s60, s71, 8                                     // 000000004140: 8F3C8847
	s_and_b32 s60, s60, 1                                      // 000000004144: 863C813C
	s_cmp_eq_i32 s60, 1                                        // 000000004148: BF00813C
	s_cbranch_scc1 label_0BC9                                  // 00000000414C: BF8501F5
	s_waitcnt vmcnt(8) lgkmcnt(0)                              // 000000004150: BF8C0078
	s_barrier                                                  // 000000004154: BF8A0000
	v_mfma_i32_16x16x32_i8 v[88:91], a[0:1], v[80:81], 0       // 000000004158: D3D70058 0A02A100
	v_mfma_i32_16x16x32_i8 v[88:91], a[2:3], v[82:83], v[88:91]// 000000004160: D3D70058 0D62A502
	v_mfma_i32_16x16x32_i8 v[88:91], a[4:5], v[84:85], v[88:91]// 000000004168: D3D70058 0D62A904
	v_mfma_i32_16x16x32_i8 v[88:91], a[6:7], v[86:87], v[88:91]// 000000004170: D3D70058 0D62AD06
	v_mfma_i32_16x16x32_i8 v[92:95], a[8:9], v[80:81], 0       // 000000004178: D3D7005C 0A02A108
	v_mfma_i32_16x16x32_i8 v[92:95], a[10:11], v[82:83], v[92:95]// 000000004180: D3D7005C 0D72A50A
	v_mfma_i32_16x16x32_i8 v[92:95], a[12:13], v[84:85], v[92:95]// 000000004188: D3D7005C 0D72A90C
	v_mfma_i32_16x16x32_i8 v[92:95], a[14:15], v[86:87], v[92:95]// 000000004190: D3D7005C 0D72AD0E
	v_mfma_i32_16x16x32_i8 v[96:99], a[16:17], v[80:81], 0     // 000000004198: D3D70060 0A02A110
	v_mfma_i32_16x16x32_i8 v[96:99], a[18:19], v[82:83], v[96:99]// 0000000041A0: D3D70060 0D82A512
	v_mfma_i32_16x16x32_i8 v[96:99], a[20:21], v[84:85], v[96:99]// 0000000041A8: D3D70060 0D82A914
	v_mfma_i32_16x16x32_i8 v[96:99], a[22:23], v[86:87], v[96:99]// 0000000041B0: D3D70060 0D82AD16
	v_mfma_i32_16x16x32_i8 v[100:103], a[24:25], v[80:81], 0   // 0000000041B8: D3D70064 0A02A118
	v_mfma_i32_16x16x32_i8 v[100:103], a[26:27], v[82:83], v[100:103]// 0000000041C0: D3D70064 0D92A51A
	v_mfma_i32_16x16x32_i8 v[100:103], a[28:29], v[84:85], v[100:103]// 0000000041C8: D3D70064 0D92A91C
	v_mfma_i32_16x16x32_i8 v[100:103], a[30:31], v[86:87], v[100:103]// 0000000041D0: D3D70064 0D92AD1E
	v_mov_b32_dpp v38, v44 row_shr:4 row_mask:0xf bank_mask:0xf// 0000000041D8: 7E4C02FA FF01142C
	v_mov_b32_dpp v39, v44 row_shl:4 row_mask:0xf bank_mask:0xf// 0000000041E0: 7E4E02FA FF01042C
	v_cndmask_b32_e64 v124, v44, v38, s[44:45]                 // 0000000041E8: D100007C 00B24D2C
	v_cndmask_b32_e64 v125, v39, v44, s[44:45]                 // 0000000041F0: D100007D 00B25927
	v_mov_b32_dpp v38, v55 row_shr:4 row_mask:0xf bank_mask:0xf// 0000000041F8: 7E4C02FA FF011437
	v_mov_b32_dpp v39, v55 row_shl:4 row_mask:0xf bank_mask:0xf// 000000004200: 7E4E02FA FF010437
	v_cndmask_b32_e64 v126, v55, v38, s[44:45]                 // 000000004208: D100007E 00B24D37
	v_cndmask_b32_e64 v127, v39, v55, s[44:45]                 // 000000004210: D100007F 00B26F27
	v_or_b32_dpp v88, v96, v88 row_shr:8 row_mask:0xf bank_mask:0xf bound_ctrl:1// 000000004218: 28B0B0FA FF091860
	v_or_b32_dpp v89, v97, v89 row_shr:8 row_mask:0xf bank_mask:0xf bound_ctrl:1// 000000004220: 28B2B2FA FF091861
	v_or_b32_dpp v90, v98, v90 row_shr:8 row_mask:0xf bank_mask:0xf bound_ctrl:1// 000000004228: 28B4B4FA FF091862
	v_or_b32_dpp v91, v99, v91 row_shr:8 row_mask:0xf bank_mask:0xf bound_ctrl:1// 000000004230: 28B6B6FA FF091863
	v_or_b32_dpp v92, v100, v92 row_shr:8 row_mask:0xf bank_mask:0xf bound_ctrl:1// 000000004238: 28B8B8FA FF091864
	v_or_b32_dpp v93, v101, v93 row_shr:8 row_mask:0xf bank_mask:0xf bound_ctrl:1// 000000004240: 28BABAFA FF091865
	v_or_b32_dpp v94, v102, v94 row_shr:8 row_mask:0xf bank_mask:0xf bound_ctrl:1// 000000004248: 28BCBCFA FF091866
	v_or_b32_dpp v95, v103, v95 row_shr:8 row_mask:0xf bank_mask:0xf bound_ctrl:1// 000000004250: 28BEBEFA FF091867
	v_cvt_f32_i32_e32 v88, v88                                 // 000000004258: 7EB00B58
	v_cvt_f32_i32_e32 v89, v89                                 // 00000000425C: 7EB20B59
	v_cvt_f32_i32_e32 v90, v90                                 // 000000004260: 7EB40B5A
	v_cvt_f32_i32_e32 v91, v91                                 // 000000004264: 7EB60B5B
	v_cvt_f32_i32_e32 v92, v92                                 // 000000004268: 7EB80B5C
	v_cvt_f32_i32_e32 v93, v93                                 // 00000000426C: 7EBA0B5D
	v_cvt_f32_i32_e32 v94, v94                                 // 000000004270: 7EBC0B5E
	v_cvt_f32_i32_e32 v95, v95                                 // 000000004274: 7EBE0B5F
	v_mul_f32_e32 v88, v46, v88                                // 000000004278: 0AB0B12E
	v_mul_f32_e32 v89, v46, v89                                // 00000000427C: 0AB2B32E
	v_mul_f32_e32 v90, v46, v90                                // 000000004280: 0AB4B52E
	v_mul_f32_e32 v91, v46, v91                                // 000000004284: 0AB6B72E
	v_mul_f32_e32 v92, v46, v92                                // 000000004288: 0AB8B92E
	v_mul_f32_e32 v93, v46, v93                                // 00000000428C: 0ABABB2E
	v_mul_f32_e32 v94, v46, v94                                // 000000004290: 0ABCBD2E
	v_mul_f32_e32 v95, v46, v95                                // 000000004294: 0ABEBF2E
	v_mul_f32_dpp v88, v124, v88 quad_perm:[0,0,0,0] row_mask:0xf bank_mask:0xf// 000000004298: 0AB0B0FA FF00007C
	v_mul_f32_dpp v89, v124, v89 quad_perm:[1,1,1,1] row_mask:0xf bank_mask:0xf// 0000000042A0: 0AB2B2FA FF00557C
	v_mul_f32_dpp v90, v124, v90 quad_perm:[2,2,2,2] row_mask:0xf bank_mask:0xf// 0000000042A8: 0AB4B4FA FF00AA7C
	v_mul_f32_dpp v91, v124, v91 quad_perm:[3,3,3,3] row_mask:0xf bank_mask:0xf// 0000000042B0: 0AB6B6FA FF00FF7C
	v_mul_f32_dpp v92, v125, v92 quad_perm:[0,0,0,0] row_mask:0xf bank_mask:0xf// 0000000042B8: 0AB8B8FA FF00007D
	v_mul_f32_dpp v93, v125, v93 quad_perm:[1,1,1,1] row_mask:0xf bank_mask:0xf// 0000000042C0: 0ABABAFA FF00557D
	v_mul_f32_dpp v94, v125, v94 quad_perm:[2,2,2,2] row_mask:0xf bank_mask:0xf// 0000000042C8: 0ABCBCFA FF00AA7D
	v_mul_f32_dpp v95, v125, v95 quad_perm:[3,3,3,3] row_mask:0xf bank_mask:0xf// 0000000042D0: 0ABEBEFA FF00FF7D
	s_and_b32 s60, s72, 0xff                                   // 0000000042D8: 863CFF48 000000FF
	v_mov_b32_e32 v62, s60                                     // 0000000042E0: 7E7C023C
	v_lshrrev_b32_e32 v116, 4, v0                              // 0000000042E4: 20E80084
	v_mul_i32_i24_e32 v116, 4, v116                            // 0000000042E8: 0CE8E884
	v_and_b32_e32 v38, 15, v0                                  // 0000000042EC: 264C008F
	v_lshrrev_b32_e32 v38, 3, v38                              // 0000000042F0: 204C4C83
	v_mul_i32_i24_e32 v38, 0x80, v38                           // 0000000042F4: 0C4C4CFF 00000080
	v_add_u32_e32 v116, v38, v116                              // 0000000042FC: 68E8E926
	s_mul_i32 s60, s7, 16                                      // 000000004300: 923C9007
	v_add_u32_e32 v116, s60, v116                              // 000000004304: 68E8E83C
	v_add_u32_e32 v117, 1, v116                                // 000000004308: 68EAE881
	v_add_u32_e32 v118, 2, v116                                // 00000000430C: 68ECE882
	v_add_u32_e32 v119, 3, v116                                // 000000004310: 68EEE883
	v_cmp_lt_u32_e64 s[40:41], v116, v62                       // 000000004314: D0C90028 00027D74
	v_add_u32_e32 v116, 64, v116                               // 00000000431C: 68E8E8C0
	s_nop 0                                                    // 000000004320: BF800000
	v_cndmask_b32_e64 v88, v52, v88, s[40:41]                  // 000000004324: D1000058 00A2B134
	v_cmp_lt_u32_e64 s[40:41], v117, v62                       // 00000000432C: D0C90028 00027D75
	v_add_u32_e32 v117, 64, v117                               // 000000004334: 68EAEAC0
	s_nop 0                                                    // 000000004338: BF800000
	v_cndmask_b32_e64 v89, v52, v89, s[40:41]                  // 00000000433C: D1000059 00A2B334
	v_cmp_lt_u32_e64 s[40:41], v118, v62                       // 000000004344: D0C90028 00027D76
	v_add_u32_e32 v118, 64, v118                               // 00000000434C: 68ECECC0
	s_nop 0                                                    // 000000004350: BF800000
	v_cndmask_b32_e64 v90, v52, v90, s[40:41]                  // 000000004354: D100005A 00A2B534
	v_cmp_lt_u32_e64 s[40:41], v119, v62                       // 00000000435C: D0C90028 00027D77
	v_add_u32_e32 v119, 64, v119                               // 000000004364: 68EEEEC0
	s_nop 0                                                    // 000000004368: BF800000
	v_cndmask_b32_e64 v91, v52, v91, s[40:41]                  // 00000000436C: D100005B 00A2B734
	v_cmp_lt_u32_e64 s[40:41], v116, v62                       // 000000004374: D0C90028 00027D74
	v_add_u32_e32 v116, 64, v116                               // 00000000437C: 68E8E8C0
	s_nop 0                                                    // 000000004380: BF800000
	v_cndmask_b32_e64 v92, v52, v92, s[40:41]                  // 000000004384: D100005C 00A2B934
	v_cmp_lt_u32_e64 s[40:41], v117, v62                       // 00000000438C: D0C90028 00027D75
	v_add_u32_e32 v117, 64, v117                               // 000000004394: 68EAEAC0
	s_nop 0                                                    // 000000004398: BF800000
	v_cndmask_b32_e64 v93, v52, v93, s[40:41]                  // 00000000439C: D100005D 00A2BB34
	v_cmp_lt_u32_e64 s[40:41], v118, v62                       // 0000000043A4: D0C90028 00027D76
	v_add_u32_e32 v118, 64, v118                               // 0000000043AC: 68ECECC0
	s_nop 0                                                    // 0000000043B0: BF800000
	v_cndmask_b32_e64 v94, v52, v94, s[40:41]                  // 0000000043B4: D100005E 00A2BD34
	v_cmp_lt_u32_e64 s[40:41], v119, v62                       // 0000000043BC: D0C90028 00027D77
	v_add_u32_e32 v119, 64, v119                               // 0000000043C4: 68EEEEC0
	s_nop 0                                                    // 0000000043C8: BF800000
	v_cndmask_b32_e64 v95, v52, v95, s[40:41]                  // 0000000043CC: D100005F 00A2BF34
	v_mov_b32_e32 v48, v88                                     // 0000000043D4: 7E600358
	v_max3_f32 v48, v88, v89, v48                              // 0000000043D8: D1D30030 04C2B358
	v_max3_f32 v48, v90, v91, v48                              // 0000000043E0: D1D30030 04C2B75A
	v_max3_f32 v48, v92, v93, v48                              // 0000000043E8: D1D30030 04C2BB5C
	v_max3_f32 v48, v94, v95, v48                              // 0000000043F0: D1D30030 04C2BF5E
	ds_write_b32 v11, v48 offset:4224                          // 0000000043F8: D81A1080 0000300B
	v_mul_u32_u24_dpp v38, v17, v51 row_newbcast:1 row_mask:0xf bank_mask:0xf// 000000004400: 104C66FA FF015111
	v_mul_u32_u24_dpp v39, v17, v51 row_newbcast:5 row_mask:0xf bank_mask:0xf// 000000004408: 104E66FA FF015511
	v_mul_u32_u24_dpp v40, v17, v51 row_newbcast:9 row_mask:0xf bank_mask:0xf// 000000004410: 105066FA FF015911
	v_mul_u32_u24_dpp v41, v17, v51 row_newbcast:13 row_mask:0xf bank_mask:0xf// 000000004418: 105266FA FF015D11
	v_add_u32_e32 v34, v38, v7                                 // 000000004420: 68440F26
	v_add_u32_e32 v35, v39, v7                                 // 000000004424: 68460F27
	v_add_u32_e32 v36, v40, v7                                 // 000000004428: 68480F28
	v_add_u32_e32 v37, v41, v7                                 // 00000000442C: 684A0F29
	s_waitcnt lgkmcnt(0)                                       // 000000004430: BF8CC07F
	s_barrier                                                  // 000000004434: BF8A0000
	ds_read_b32 v64, v10 offset:4224                           // 000000004438: D86C1080 4000000A
	ds_read_b32 v65, v10 offset:4288                           // 000000004440: D86C10C0 4100000A
	ds_read_b32 v66, v10 offset:4352                           // 000000004448: D86C1100 4200000A
	ds_read_b32 v67, v10 offset:4416                           // 000000004450: D86C1140 4300000A
	ds_read_b32 v68, v10 offset:4480                           // 000000004458: D86C1180 4400000A
	ds_read_b32 v69, v10 offset:4544                           // 000000004460: D86C11C0 4500000A
	ds_read_b32 v70, v10 offset:4608                           // 000000004468: D86C1200 4600000A
	ds_read_b32 v71, v10 offset:4672                           // 000000004470: D86C1240 4700000A
	ds_read_b32 v72, v10 offset:4736                           // 000000004478: D86C1280 4800000A
	ds_read_b32 v73, v10 offset:4800                           // 000000004480: D86C12C0 4900000A
	ds_read_b32 v74, v10 offset:4864                           // 000000004488: D86C1300 4A00000A
	ds_read_b32 v75, v10 offset:4928                           // 000000004490: D86C1340 4B00000A
	ds_read_b32 v76, v10 offset:4992                           // 000000004498: D86C1380 4C00000A
	ds_read_b32 v77, v10 offset:5056                           // 0000000044A0: D86C13C0 4D00000A
	ds_read_b32 v78, v10 offset:5120                           // 0000000044A8: D86C1400 4E00000A
	ds_read_b32 v79, v10 offset:5184                           // 0000000044B0: D86C1440 4F00000A
	v_mul_f32_e32 v112, v49, v112                              // 0000000044B8: 0AE0E131
	v_mul_f32_e32 v113, v49, v113                              // 0000000044BC: 0AE2E331
	v_mul_f32_e32 v114, v49, v114                              // 0000000044C0: 0AE4E531
	v_mul_f32_e32 v115, v49, v115                              // 0000000044C4: 0AE6E731
	v_or_b32_dpp v104, v108, v104 row_shr:8 row_mask:0xf bank_mask:0xf bound_ctrl:1// 0000000044C8: 28D0D0FA FF09186C
	v_or_b32_dpp v105, v109, v105 row_shr:8 row_mask:0xf bank_mask:0xf bound_ctrl:1// 0000000044D0: 28D2D2FA FF09186D
	v_or_b32_dpp v106, v110, v106 row_shr:8 row_mask:0xf bank_mask:0xf bound_ctrl:1// 0000000044D8: 28D4D4FA FF09186E
	v_or_b32_dpp v107, v111, v107 row_shr:8 row_mask:0xf bank_mask:0xf bound_ctrl:1// 0000000044E0: 28D6D6FA FF09186F
	s_waitcnt lgkmcnt(0)                                       // 0000000044E8: BF8CC07F
	v_max3_f32 v48, v64, v65, v48                              // 0000000044EC: D1D30030 04C28340
	v_max3_f32 v48, v66, v67, v48                              // 0000000044F4: D1D30030 04C28742
	v_max3_f32 v48, v68, v69, v48                              // 0000000044FC: D1D30030 04C28B44
	v_max3_f32 v48, v70, v71, v48                              // 000000004504: D1D30030 04C28F46
	v_max3_f32 v48, v72, v73, v48                              // 00000000450C: D1D30030 04C29348
	v_max3_f32 v48, v74, v75, v48                              // 000000004514: D1D30030 04C2974A
	v_max3_f32 v48, v76, v77, v48                              // 00000000451C: D1D30030 04C29B4C
	v_max3_f32 v48, v78, v79, v48                              // 000000004524: D1D30030 04C29F4E
	v_cmp_eq_u32_e64 s[40:41], v52, v14                        // 00000000452C: D0CA0028 00021D34
	s_nop 1                                                    // 000000004534: BF800001
	v_mov_b32_dpp v38, v48 row_ror:8 row_mask:0xf bank_mask:0xf// 000000004538: 7E4C02FA FF012830
	v_max_f32_e32 v48, v48, v38                                // 000000004540: 16604D30
	v_max_f32_e32 v15, v48, v14                                // 000000004544: 161E1D30
	v_mul_f32_e32 v50, s64, v15                                // 000000004548: 0A641E40
	v_fma_f32 v88, v88, s64, -v50                              // 00000000454C: D1CB0058 84C88158
	v_fma_f32 v89, v89, s64, -v50                              // 000000004554: D1CB0059 84C88159
	v_fma_f32 v90, v90, s64, -v50                              // 00000000455C: D1CB005A 84C8815A
	v_fma_f32 v91, v91, s64, -v50                              // 000000004564: D1CB005B 84C8815B
	v_fma_f32 v92, v92, s64, -v50                              // 00000000456C: D1CB005C 84C8815C
	v_fma_f32 v93, v93, s64, -v50                              // 000000004574: D1CB005D 84C8815D
	v_fma_f32 v94, v94, s64, -v50                              // 00000000457C: D1CB005E 84C8815E
	v_fma_f32 v95, v95, s64, -v50                              // 000000004584: D1CB005F 84C8815F
	v_exp_f32_e32 v88, v88                                     // 00000000458C: 7EB04158
	v_exp_f32_e32 v89, v89                                     // 000000004590: 7EB24159
	v_exp_f32_e32 v90, v90                                     // 000000004594: 7EB4415A
	v_exp_f32_e32 v91, v91                                     // 000000004598: 7EB6415B
	v_exp_f32_e32 v92, v92                                     // 00000000459C: 7EB8415C
	v_exp_f32_e32 v93, v93                                     // 0000000045A0: 7EBA415D
	v_exp_f32_e32 v94, v94                                     // 0000000045A4: 7EBC415E
	v_exp_f32_e32 v95, v95                                     // 0000000045A8: 7EBE415F
	v_mul_f32_dpp v116, v126, v88 quad_perm:[0,0,0,0] row_mask:0xf bank_mask:0xf// 0000000045AC: 0AE8B0FA FF00007E
	v_mul_f32_dpp v117, v126, v89 quad_perm:[1,1,1,1] row_mask:0xf bank_mask:0xf// 0000000045B4: 0AEAB2FA FF00557E
	v_mul_f32_dpp v118, v126, v90 quad_perm:[2,2,2,2] row_mask:0xf bank_mask:0xf// 0000000045BC: 0AECB4FA FF00AA7E
	v_mul_f32_dpp v119, v126, v91 quad_perm:[3,3,3,3] row_mask:0xf bank_mask:0xf// 0000000045C4: 0AEEB6FA FF00FF7E
	v_mul_f32_dpp v120, v127, v92 quad_perm:[0,0,0,0] row_mask:0xf bank_mask:0xf// 0000000045CC: 0AF0B8FA FF00007F
	v_mul_f32_dpp v121, v127, v93 quad_perm:[1,1,1,1] row_mask:0xf bank_mask:0xf// 0000000045D4: 0AF2BAFA FF00557F
	v_mul_f32_dpp v122, v127, v94 quad_perm:[2,2,2,2] row_mask:0xf bank_mask:0xf// 0000000045DC: 0AF4BCFA FF00AA7F
	v_mul_f32_dpp v123, v127, v95 quad_perm:[3,3,3,3] row_mask:0xf bank_mask:0xf// 0000000045E4: 0AF6BEFA FF00FF7F
	v_mov_b32_e32 v48, 0x358637bd                              // 0000000045EC: 7E6002FF 358637BD
	v_max3_f32 v48, |v116|, |v117|, v48                        // 0000000045F4: D1D30330 04C2EB74
	v_max3_f32 v48, |v118|, |v119|, v48                        // 0000000045FC: D1D30330 04C2EF76
	v_max3_f32 v48, |v120|, |v121|, v48                        // 000000004604: D1D30330 04C2F378
	v_max3_f32 v48, |v122|, |v123|, v48                        // 00000000460C: D1D30330 04C2F77A
	ds_write_b32 v11, v48 offset:5248                          // 000000004614: D81A1480 0000300B
	v_sub_f32_e32 v49, v14, v15                                // 00000000461C: 04621F0E
	v_cndmask_b32_e64 v49, v49, 0, s[40:41]                    // 000000004620: D1000031 00A10131
	v_mov_b32_e32 v14, v15                                     // 000000004628: 7E1C030F
	v_mul_f32_e32 v49, s64, v49                                // 00000000462C: 0A626240
	v_exp_f32_e32 v49, v49                                     // 000000004630: 7E624131
	s_waitcnt lgkmcnt(0)                                       // 000000004634: BF8CC07F
	s_barrier                                                  // 000000004638: BF8A0000
	ds_read_b32 v64, v10 offset:5248                           // 00000000463C: D86C1480 4000000A
	ds_read_b32 v65, v10 offset:5312                           // 000000004644: D86C14C0 4100000A
	ds_read_b32 v66, v10 offset:5376                           // 00000000464C: D86C1500 4200000A
	ds_read_b32 v67, v10 offset:5440                           // 000000004654: D86C1540 4300000A
	ds_read_b32 v68, v10 offset:5504                           // 00000000465C: D86C1580 4400000A
	ds_read_b32 v69, v10 offset:5568                           // 000000004664: D86C15C0 4500000A
	ds_read_b32 v70, v10 offset:5632                           // 00000000466C: D86C1600 4600000A
	ds_read_b32 v71, v10 offset:5696                           // 000000004674: D86C1640 4700000A
	ds_read_b32 v72, v10 offset:5760                           // 00000000467C: D86C1680 4800000A
	ds_read_b32 v73, v10 offset:5824                           // 000000004684: D86C16C0 4900000A
	ds_read_b32 v74, v10 offset:5888                           // 00000000468C: D86C1700 4A00000A
	ds_read_b32 v75, v10 offset:5952                           // 000000004694: D86C1740 4B00000A
	ds_read_b32 v76, v10 offset:6016                           // 00000000469C: D86C1780 4C00000A
	ds_read_b32 v77, v10 offset:6080                           // 0000000046A4: D86C17C0 4D00000A
	ds_read_b32 v78, v10 offset:6144                           // 0000000046AC: D86C1800 4E00000A
	ds_read_b32 v79, v10 offset:6208                           // 0000000046B4: D86C1840 4F00000A
	v_mul_f32_e32 v42, v49, v42                                // 0000000046BC: 0A545531
	v_mov_b32_e32 v43, v88                                     // 0000000046C0: 7E560358
	v_add_f32_e32 v43, v89, v43                                // 0000000046C4: 02565759
	v_add_f32_e32 v43, v90, v43                                // 0000000046C8: 0256575A
	v_add_f32_e32 v43, v91, v43                                // 0000000046CC: 0256575B
	v_add_f32_e32 v43, v92, v43                                // 0000000046D0: 0256575C
	v_add_f32_e32 v43, v93, v43                                // 0000000046D4: 0256575D
	v_add_f32_e32 v43, v94, v43                                // 0000000046D8: 0256575E
	v_add_f32_e32 v43, v95, v43                                // 0000000046DC: 0256575F
	v_add_f32_e32 v42, v43, v42                                // 0000000046E0: 0254552B
	s_waitcnt lgkmcnt(0)                                       // 0000000046E4: BF8CC07F
	v_max3_f32 v48, |v64|, |v65|, v48                          // 0000000046E8: D1D30330 04C28340
	v_max3_f32 v48, |v66|, |v67|, v48                          // 0000000046F0: D1D30330 04C28742
	v_max3_f32 v48, |v68|, |v69|, v48                          // 0000000046F8: D1D30330 04C28B44
	v_max3_f32 v48, |v70|, |v71|, v48                          // 000000004700: D1D30330 04C28F46
	v_max3_f32 v48, |v72|, |v73|, v48                          // 000000004708: D1D30330 04C29348
	v_max3_f32 v48, |v74|, |v75|, v48                          // 000000004710: D1D30330 04C2974A
	v_max3_f32 v48, |v76|, |v77|, v48                          // 000000004718: D1D30330 04C29B4C
	v_max3_f32 v48, |v78|, |v79|, v48                          // 000000004720: D1D30330 04C29F4E
	s_nop 2                                                    // 000000004728: BF800002
	v_mov_b32_dpp v38, v48 row_ror:8 row_mask:0xf bank_mask:0xf// 00000000472C: 7E4C02FA FF012830
	v_max_f32_e32 v48, v48, v38                                // 000000004734: 16604D30
	v_rcp_f32_e32 v48, v48                                     // 000000004738: 7E604530
	s_nop 1                                                    // 00000000473C: BF800001
	v_mul_f32_e32 v48, 0x42fe0000, v48                         // 000000004740: 0A6060FF 42FE0000
	v_mul_f32_e32 v88, v48, v116                               // 000000004748: 0AB0E930
	v_mul_f32_e32 v89, v48, v117                               // 00000000474C: 0AB2EB30
	v_mul_f32_e32 v90, v48, v118                               // 000000004750: 0AB4ED30
	v_mul_f32_e32 v91, v48, v119                               // 000000004754: 0AB6EF30
	v_mul_f32_e32 v92, v48, v120                               // 000000004758: 0AB8F130
	v_mul_f32_e32 v93, v48, v121                               // 00000000475C: 0ABAF330
	v_mul_f32_e32 v94, v48, v122                               // 000000004760: 0ABCF530
	v_mul_f32_e32 v95, v48, v123                               // 000000004764: 0ABEF730
	v_cvt_i32_f32_e32 v88, v88                                 // 000000004768: 7EB01158
	v_cvt_i32_f32_e32 v89, v89                                 // 00000000476C: 7EB21159
	v_cvt_i32_f32_e32 v90, v90                                 // 000000004770: 7EB4115A
	v_cvt_i32_f32_e32 v91, v91                                 // 000000004774: 7EB6115B
	v_cvt_i32_f32_e32 v92, v92                                 // 000000004778: 7EB8115C
	v_cvt_i32_f32_e32 v93, v93                                 // 00000000477C: 7EBA115D
	v_cvt_i32_f32_e32 v94, v94                                 // 000000004780: 7EBC115E
	v_cvt_i32_f32_e32 v95, v95                                 // 000000004784: 7EBE115F
	v_perm_b32 v88, v89, v88, s53                              // 000000004788: D1ED0058 00D6B159
	v_perm_b32 v88, v90, v88, s54                              // 000000004790: D1ED0058 00DAB15A
	v_perm_b32 v88, v91, v88, s55                              // 000000004798: D1ED0058 00DEB15B
	v_perm_b32 v89, v93, v92, s53                              // 0000000047A0: D1ED0059 00D6B95D
	v_perm_b32 v89, v94, v89, s54                              // 0000000047A8: D1ED0059 00DAB35E
	v_perm_b32 v89, v95, v89, s55                              // 0000000047B0: D1ED0059 00DEB35F
	ds_write_b32 v13, v88 offset:6272                          // 0000000047B8: D81A1880 0000580D
	ds_write_b32 v13, v89 offset:7296                          // 0000000047C0: D81A1C80 0000590D
	v_cvt_f32_i32_e32 v104, v104                               // 0000000047C8: 7ED00B68
	v_cvt_f32_i32_e32 v105, v105                               // 0000000047CC: 7ED20B69
	v_cvt_f32_i32_e32 v106, v106                               // 0000000047D0: 7ED40B6A
	v_cvt_f32_i32_e32 v107, v107                               // 0000000047D4: 7ED60B6B
	v_mul_f32_e32 v104, v47, v104                              // 0000000047D8: 0AD0D12F
	v_mul_f32_e32 v105, v47, v105                              // 0000000047DC: 0AD2D32F
	v_mul_f32_e32 v106, v47, v106                              // 0000000047E0: 0AD4D52F
	v_mul_f32_e32 v107, v47, v107                              // 0000000047E4: 0AD6D72F
	v_rcp_f32_e32 v47, v48                                     // 0000000047E8: 7E5E4530
	s_waitcnt lgkmcnt(0)                                       // 0000000047EC: BF8CC07F
	s_barrier                                                  // 0000000047F0: BF8A0000
	ds_read_b64 v[88:89], v12 offset:6272                      // 0000000047F4: D8EC1880 5800000C
	ds_read_b64 v[90:91], v12 offset:6400                      // 0000000047FC: D8EC1900 5A00000C
	ds_read_b64 v[92:93], v12 offset:7296                      // 000000004804: D8EC1C80 5C00000C
	ds_read_b64 v[94:95], v12 offset:7424                      // 00000000480C: D8EC1D00 5E00000C
	v_add_f32_e32 v112, v112, v104                             // 000000004814: 02E0D170
	v_add_f32_e32 v113, v113, v105                             // 000000004818: 02E2D371
	v_add_f32_e32 v114, v114, v106                             // 00000000481C: 02E4D572
	v_add_f32_e32 v115, v115, v107                             // 000000004820: 02E6D773
	s_waitcnt lgkmcnt(3)                                       // 000000004824: BF8CC37F
	v_mov_b32_dpp v96, v88 row_shl:8 row_mask:0xf bank_mask:0xf bound_ctrl:1// 000000004828: 7EC002FA FF090858
	v_and_b32_e32 v88, v88, v9                                 // 000000004830: 26B01358
	v_mov_b32_dpp v97, v89 row_shl:8 row_mask:0xf bank_mask:0xf bound_ctrl:1// 000000004834: 7EC202FA FF090859
	v_and_b32_e32 v89, v89, v9                                 // 00000000483C: 26B21359
	s_waitcnt lgkmcnt(2)                                       // 000000004840: BF8CC27F
	v_mov_b32_dpp v98, v90 row_shl:8 row_mask:0xf bank_mask:0xf bound_ctrl:1// 000000004844: 7EC402FA FF09085A
	v_and_b32_e32 v90, v90, v9                                 // 00000000484C: 26B4135A
	v_mov_b32_dpp v99, v91 row_shl:8 row_mask:0xf bank_mask:0xf bound_ctrl:1// 000000004850: 7EC602FA FF09085B
	v_and_b32_e32 v91, v91, v9                                 // 000000004858: 26B6135B
	s_waitcnt lgkmcnt(1)                                       // 00000000485C: BF8CC17F
	v_mov_b32_dpp v100, v92 row_shl:8 row_mask:0xf bank_mask:0xf bound_ctrl:1// 000000004860: 7EC802FA FF09085C
	v_and_b32_e32 v92, v92, v9                                 // 000000004868: 26B8135C
	v_mov_b32_dpp v101, v93 row_shl:8 row_mask:0xf bank_mask:0xf bound_ctrl:1// 00000000486C: 7ECA02FA FF09085D
	v_and_b32_e32 v93, v93, v9                                 // 000000004874: 26BA135D
	s_waitcnt lgkmcnt(0)                                       // 000000004878: BF8CC07F
	v_mov_b32_dpp v102, v94 row_shl:8 row_mask:0xf bank_mask:0xf bound_ctrl:1// 00000000487C: 7ECC02FA FF09085E
	v_and_b32_e32 v94, v94, v9                                 // 000000004884: 26BC135E
	v_mov_b32_dpp v103, v95 row_shl:8 row_mask:0xf bank_mask:0xf bound_ctrl:1// 000000004888: 7ECE02FA FF09085F
	v_and_b32_e32 v95, v95, v9                                 // 000000004890: 26BE135F
	s_waitcnt vmcnt(0)                                         // 000000004894: BF8C0F70
	s_barrier                                                  // 000000004898: BF8A0000
	v_mfma_i32_16x16x32_i8 v[104:107], a[64:65], v[88:89], 0   // 00000000489C: D3D70068 0A02B140
	v_mfma_i32_16x16x32_i8 v[104:107], a[66:67], v[90:91], v[104:107]// 0000000048A4: D3D70068 0DA2B542
	v_mfma_i32_16x16x32_i8 v[104:107], a[68:69], v[92:93], v[104:107]// 0000000048AC: D3D70068 0DA2B944
	v_mfma_i32_16x16x32_i8 v[104:107], a[70:71], v[94:95], v[104:107]// 0000000048B4: D3D70068 0DA2BD46
	v_mfma_i32_16x16x32_i8 v[104:107], a[72:73], v[96:97], v[104:107]// 0000000048BC: D3D70068 0DA2C148
	v_mfma_i32_16x16x32_i8 v[104:107], a[74:75], v[98:99], v[104:107]// 0000000048C4: D3D70068 0DA2C54A
	v_mfma_i32_16x16x32_i8 v[104:107], a[76:77], v[100:101], v[104:107]// 0000000048CC: D3D70068 0DA2C94C
	v_mfma_i32_16x16x32_i8 v[104:107], a[78:79], v[102:103], v[104:107]// 0000000048D4: D3D70068 0DA2CD4E
	v_mfma_i32_16x16x32_i8 v[108:111], a[80:81], v[88:89], 0   // 0000000048DC: D3D7006C 0A02B150
	v_mfma_i32_16x16x32_i8 v[108:111], a[82:83], v[90:91], v[108:111]// 0000000048E4: D3D7006C 0DB2B552
	v_mfma_i32_16x16x32_i8 v[108:111], a[84:85], v[92:93], v[108:111]// 0000000048EC: D3D7006C 0DB2B954
	v_mfma_i32_16x16x32_i8 v[108:111], a[86:87], v[94:95], v[108:111]// 0000000048F4: D3D7006C 0DB2BD56
	v_mfma_i32_16x16x32_i8 v[108:111], a[88:89], v[96:97], v[108:111]// 0000000048FC: D3D7006C 0DB2C158
	v_mfma_i32_16x16x32_i8 v[108:111], a[90:91], v[98:99], v[108:111]// 000000004904: D3D7006C 0DB2C55A
	v_mfma_i32_16x16x32_i8 v[108:111], a[92:93], v[100:101], v[108:111]// 00000000490C: D3D7006C 0DB2C95C
	v_mfma_i32_16x16x32_i8 v[108:111], a[94:95], v[102:103], v[108:111]// 000000004914: D3D7006C 0DB2CD5E
	s_nop 4                                                    // 00000000491C: BF800004
	s_branch label_0DBE                                        // 000000004920: BF8201F5

0000000000004924 <label_0BC9>:
	s_waitcnt vmcnt(8) lgkmcnt(0)                              // 000000004924: BF8C0078
	s_barrier                                                  // 000000004928: BF8A0000
	v_mfma_i32_16x16x32_i8 v[88:91], a[32:33], v[80:81], 0     // 00000000492C: D3D70058 0A02A120
	v_mfma_i32_16x16x32_i8 v[88:91], a[34:35], v[82:83], v[88:91]// 000000004934: D3D70058 0D62A522
	v_mfma_i32_16x16x32_i8 v[88:91], a[36:37], v[84:85], v[88:91]// 00000000493C: D3D70058 0D62A924
	v_mfma_i32_16x16x32_i8 v[88:91], a[38:39], v[86:87], v[88:91]// 000000004944: D3D70058 0D62AD26
	v_mfma_i32_16x16x32_i8 v[92:95], a[40:41], v[80:81], 0     // 00000000494C: D3D7005C 0A02A128
	v_mfma_i32_16x16x32_i8 v[92:95], a[42:43], v[82:83], v[92:95]// 000000004954: D3D7005C 0D72A52A
	v_mfma_i32_16x16x32_i8 v[92:95], a[44:45], v[84:85], v[92:95]// 00000000495C: D3D7005C 0D72A92C
	v_mfma_i32_16x16x32_i8 v[92:95], a[46:47], v[86:87], v[92:95]// 000000004964: D3D7005C 0D72AD2E
	v_mfma_i32_16x16x32_i8 v[96:99], a[48:49], v[80:81], 0     // 00000000496C: D3D70060 0A02A130
	v_mfma_i32_16x16x32_i8 v[96:99], a[50:51], v[82:83], v[96:99]// 000000004974: D3D70060 0D82A532
	v_mfma_i32_16x16x32_i8 v[96:99], a[52:53], v[84:85], v[96:99]// 00000000497C: D3D70060 0D82A934
	v_mfma_i32_16x16x32_i8 v[96:99], a[54:55], v[86:87], v[96:99]// 000000004984: D3D70060 0D82AD36
	v_mfma_i32_16x16x32_i8 v[100:103], a[56:57], v[80:81], 0   // 00000000498C: D3D70064 0A02A138
	v_mfma_i32_16x16x32_i8 v[100:103], a[58:59], v[82:83], v[100:103]// 000000004994: D3D70064 0D92A53A
	v_mfma_i32_16x16x32_i8 v[100:103], a[60:61], v[84:85], v[100:103]// 00000000499C: D3D70064 0D92A93C
	v_mfma_i32_16x16x32_i8 v[100:103], a[62:63], v[86:87], v[100:103]// 0000000049A4: D3D70064 0D92AD3E
	v_mov_b32_dpp v38, v45 row_shr:4 row_mask:0xf bank_mask:0xf// 0000000049AC: 7E4C02FA FF01142D
	v_mov_b32_dpp v39, v45 row_shl:4 row_mask:0xf bank_mask:0xf// 0000000049B4: 7E4E02FA FF01042D
	v_cndmask_b32_e64 v124, v45, v38, s[44:45]                 // 0000000049BC: D100007C 00B24D2D
	v_cndmask_b32_e64 v125, v39, v45, s[44:45]                 // 0000000049C4: D100007D 00B25B27
	v_mov_b32_dpp v38, v56 row_shr:4 row_mask:0xf bank_mask:0xf// 0000000049CC: 7E4C02FA FF011438
	v_mov_b32_dpp v39, v56 row_shl:4 row_mask:0xf bank_mask:0xf// 0000000049D4: 7E4E02FA FF010438
	v_cndmask_b32_e64 v126, v56, v38, s[44:45]                 // 0000000049DC: D100007E 00B24D38
	v_cndmask_b32_e64 v127, v39, v56, s[44:45]                 // 0000000049E4: D100007F 00B27127
	v_or_b32_dpp v88, v96, v88 row_shr:8 row_mask:0xf bank_mask:0xf bound_ctrl:1// 0000000049EC: 28B0B0FA FF091860
	v_or_b32_dpp v89, v97, v89 row_shr:8 row_mask:0xf bank_mask:0xf bound_ctrl:1// 0000000049F4: 28B2B2FA FF091861
	v_or_b32_dpp v90, v98, v90 row_shr:8 row_mask:0xf bank_mask:0xf bound_ctrl:1// 0000000049FC: 28B4B4FA FF091862
	v_or_b32_dpp v91, v99, v91 row_shr:8 row_mask:0xf bank_mask:0xf bound_ctrl:1// 000000004A04: 28B6B6FA FF091863
	v_or_b32_dpp v92, v100, v92 row_shr:8 row_mask:0xf bank_mask:0xf bound_ctrl:1// 000000004A0C: 28B8B8FA FF091864
	v_or_b32_dpp v93, v101, v93 row_shr:8 row_mask:0xf bank_mask:0xf bound_ctrl:1// 000000004A14: 28BABAFA FF091865
	v_or_b32_dpp v94, v102, v94 row_shr:8 row_mask:0xf bank_mask:0xf bound_ctrl:1// 000000004A1C: 28BCBCFA FF091866
	v_or_b32_dpp v95, v103, v95 row_shr:8 row_mask:0xf bank_mask:0xf bound_ctrl:1// 000000004A24: 28BEBEFA FF091867
	v_cvt_f32_i32_e32 v88, v88                                 // 000000004A2C: 7EB00B58
	v_cvt_f32_i32_e32 v89, v89                                 // 000000004A30: 7EB20B59
	v_cvt_f32_i32_e32 v90, v90                                 // 000000004A34: 7EB40B5A
	v_cvt_f32_i32_e32 v91, v91                                 // 000000004A38: 7EB60B5B
	v_cvt_f32_i32_e32 v92, v92                                 // 000000004A3C: 7EB80B5C
	v_cvt_f32_i32_e32 v93, v93                                 // 000000004A40: 7EBA0B5D
	v_cvt_f32_i32_e32 v94, v94                                 // 000000004A44: 7EBC0B5E
	v_cvt_f32_i32_e32 v95, v95                                 // 000000004A48: 7EBE0B5F
	v_mul_f32_e32 v88, v46, v88                                // 000000004A4C: 0AB0B12E
	v_mul_f32_e32 v89, v46, v89                                // 000000004A50: 0AB2B32E
	v_mul_f32_e32 v90, v46, v90                                // 000000004A54: 0AB4B52E
	v_mul_f32_e32 v91, v46, v91                                // 000000004A58: 0AB6B72E
	v_mul_f32_e32 v92, v46, v92                                // 000000004A5C: 0AB8B92E
	v_mul_f32_e32 v93, v46, v93                                // 000000004A60: 0ABABB2E
	v_mul_f32_e32 v94, v46, v94                                // 000000004A64: 0ABCBD2E
	v_mul_f32_e32 v95, v46, v95                                // 000000004A68: 0ABEBF2E
	v_mul_f32_dpp v88, v124, v88 quad_perm:[0,0,0,0] row_mask:0xf bank_mask:0xf// 000000004A6C: 0AB0B0FA FF00007C
	v_mul_f32_dpp v89, v124, v89 quad_perm:[1,1,1,1] row_mask:0xf bank_mask:0xf// 000000004A74: 0AB2B2FA FF00557C
	v_mul_f32_dpp v90, v124, v90 quad_perm:[2,2,2,2] row_mask:0xf bank_mask:0xf// 000000004A7C: 0AB4B4FA FF00AA7C
	v_mul_f32_dpp v91, v124, v91 quad_perm:[3,3,3,3] row_mask:0xf bank_mask:0xf// 000000004A84: 0AB6B6FA FF00FF7C
	v_mul_f32_dpp v92, v125, v92 quad_perm:[0,0,0,0] row_mask:0xf bank_mask:0xf// 000000004A8C: 0AB8B8FA FF00007D
	v_mul_f32_dpp v93, v125, v93 quad_perm:[1,1,1,1] row_mask:0xf bank_mask:0xf// 000000004A94: 0ABABAFA FF00557D
	v_mul_f32_dpp v94, v125, v94 quad_perm:[2,2,2,2] row_mask:0xf bank_mask:0xf// 000000004A9C: 0ABCBCFA FF00AA7D
	v_mul_f32_dpp v95, v125, v95 quad_perm:[3,3,3,3] row_mask:0xf bank_mask:0xf// 000000004AA4: 0ABEBEFA FF00FF7D
	s_and_b32 s60, s72, 0xff                                   // 000000004AAC: 863CFF48 000000FF
	v_mov_b32_e32 v62, s60                                     // 000000004AB4: 7E7C023C
	v_lshrrev_b32_e32 v116, 4, v0                              // 000000004AB8: 20E80084
	v_mul_i32_i24_e32 v116, 4, v116                            // 000000004ABC: 0CE8E884
	v_and_b32_e32 v38, 15, v0                                  // 000000004AC0: 264C008F
	v_lshrrev_b32_e32 v38, 3, v38                              // 000000004AC4: 204C4C83
	v_mul_i32_i24_e32 v38, 0x80, v38                           // 000000004AC8: 0C4C4CFF 00000080
	v_add_u32_e32 v116, v38, v116                              // 000000004AD0: 68E8E926
	s_mul_i32 s60, s7, 16                                      // 000000004AD4: 923C9007
	v_add_u32_e32 v116, s60, v116                              // 000000004AD8: 68E8E83C
	v_add_u32_e32 v117, 1, v116                                // 000000004ADC: 68EAE881
	v_add_u32_e32 v118, 2, v116                                // 000000004AE0: 68ECE882
	v_add_u32_e32 v119, 3, v116                                // 000000004AE4: 68EEE883
	v_cmp_lt_u32_e64 s[40:41], v116, v62                       // 000000004AE8: D0C90028 00027D74
	v_add_u32_e32 v116, 64, v116                               // 000000004AF0: 68E8E8C0
	s_nop 0                                                    // 000000004AF4: BF800000
	v_cndmask_b32_e64 v88, v52, v88, s[40:41]                  // 000000004AF8: D1000058 00A2B134
	v_cmp_lt_u32_e64 s[40:41], v117, v62                       // 000000004B00: D0C90028 00027D75
	v_add_u32_e32 v117, 64, v117                               // 000000004B08: 68EAEAC0
	s_nop 0                                                    // 000000004B0C: BF800000
	v_cndmask_b32_e64 v89, v52, v89, s[40:41]                  // 000000004B10: D1000059 00A2B334
	v_cmp_lt_u32_e64 s[40:41], v118, v62                       // 000000004B18: D0C90028 00027D76
	v_add_u32_e32 v118, 64, v118                               // 000000004B20: 68ECECC0
	s_nop 0                                                    // 000000004B24: BF800000
	v_cndmask_b32_e64 v90, v52, v90, s[40:41]                  // 000000004B28: D100005A 00A2B534
	v_cmp_lt_u32_e64 s[40:41], v119, v62                       // 000000004B30: D0C90028 00027D77
	v_add_u32_e32 v119, 64, v119                               // 000000004B38: 68EEEEC0
	s_nop 0                                                    // 000000004B3C: BF800000
	v_cndmask_b32_e64 v91, v52, v91, s[40:41]                  // 000000004B40: D100005B 00A2B734
	v_cmp_lt_u32_e64 s[40:41], v116, v62                       // 000000004B48: D0C90028 00027D74
	v_add_u32_e32 v116, 64, v116                               // 000000004B50: 68E8E8C0
	s_nop 0                                                    // 000000004B54: BF800000
	v_cndmask_b32_e64 v92, v52, v92, s[40:41]                  // 000000004B58: D100005C 00A2B934
	v_cmp_lt_u32_e64 s[40:41], v117, v62                       // 000000004B60: D0C90028 00027D75
	v_add_u32_e32 v117, 64, v117                               // 000000004B68: 68EAEAC0
	s_nop 0                                                    // 000000004B6C: BF800000
	v_cndmask_b32_e64 v93, v52, v93, s[40:41]                  // 000000004B70: D100005D 00A2BB34
	v_cmp_lt_u32_e64 s[40:41], v118, v62                       // 000000004B78: D0C90028 00027D76
	v_add_u32_e32 v118, 64, v118                               // 000000004B80: 68ECECC0
	s_nop 0                                                    // 000000004B84: BF800000
	v_cndmask_b32_e64 v94, v52, v94, s[40:41]                  // 000000004B88: D100005E 00A2BD34
	v_cmp_lt_u32_e64 s[40:41], v119, v62                       // 000000004B90: D0C90028 00027D77
	v_add_u32_e32 v119, 64, v119                               // 000000004B98: 68EEEEC0
	s_nop 0                                                    // 000000004B9C: BF800000
	v_cndmask_b32_e64 v95, v52, v95, s[40:41]                  // 000000004BA0: D100005F 00A2BF34
	v_mov_b32_e32 v48, v88                                     // 000000004BA8: 7E600358
	v_max3_f32 v48, v88, v89, v48                              // 000000004BAC: D1D30030 04C2B358
	v_max3_f32 v48, v90, v91, v48                              // 000000004BB4: D1D30030 04C2B75A
	v_max3_f32 v48, v92, v93, v48                              // 000000004BBC: D1D30030 04C2BB5C
	v_max3_f32 v48, v94, v95, v48                              // 000000004BC4: D1D30030 04C2BF5E
	ds_write_b32 v11, v48 offset:4224                          // 000000004BCC: D81A1080 0000300B
	v_mul_u32_u24_dpp v38, v16, v51 row_newbcast:1 row_mask:0xf bank_mask:0xf// 000000004BD4: 104C66FA FF015110
	v_mul_u32_u24_dpp v39, v16, v51 row_newbcast:5 row_mask:0xf bank_mask:0xf// 000000004BDC: 104E66FA FF015510
	v_mul_u32_u24_dpp v40, v16, v51 row_newbcast:9 row_mask:0xf bank_mask:0xf// 000000004BE4: 105066FA FF015910
	v_mul_u32_u24_dpp v41, v16, v51 row_newbcast:13 row_mask:0xf bank_mask:0xf// 000000004BEC: 105266FA FF015D10
	v_add_u32_e32 v30, v38, v7                                 // 000000004BF4: 683C0F26
	v_add_u32_e32 v31, v39, v7                                 // 000000004BF8: 683E0F27
	v_add_u32_e32 v32, v40, v7                                 // 000000004BFC: 68400F28
	v_add_u32_e32 v33, v41, v7                                 // 000000004C00: 68420F29
	s_waitcnt lgkmcnt(0)                                       // 000000004C04: BF8CC07F
	s_barrier                                                  // 000000004C08: BF8A0000
	ds_read_b32 v64, v10 offset:4224                           // 000000004C0C: D86C1080 4000000A
	ds_read_b32 v65, v10 offset:4288                           // 000000004C14: D86C10C0 4100000A
	ds_read_b32 v66, v10 offset:4352                           // 000000004C1C: D86C1100 4200000A
	ds_read_b32 v67, v10 offset:4416                           // 000000004C24: D86C1140 4300000A
	ds_read_b32 v68, v10 offset:4480                           // 000000004C2C: D86C1180 4400000A
	ds_read_b32 v69, v10 offset:4544                           // 000000004C34: D86C11C0 4500000A
	ds_read_b32 v70, v10 offset:4608                           // 000000004C3C: D86C1200 4600000A
	ds_read_b32 v71, v10 offset:4672                           // 000000004C44: D86C1240 4700000A
	ds_read_b32 v72, v10 offset:4736                           // 000000004C4C: D86C1280 4800000A
	ds_read_b32 v73, v10 offset:4800                           // 000000004C54: D86C12C0 4900000A
	ds_read_b32 v74, v10 offset:4864                           // 000000004C5C: D86C1300 4A00000A
	ds_read_b32 v75, v10 offset:4928                           // 000000004C64: D86C1340 4B00000A
	ds_read_b32 v76, v10 offset:4992                           // 000000004C6C: D86C1380 4C00000A
	ds_read_b32 v77, v10 offset:5056                           // 000000004C74: D86C13C0 4D00000A
	ds_read_b32 v78, v10 offset:5120                           // 000000004C7C: D86C1400 4E00000A
	ds_read_b32 v79, v10 offset:5184                           // 000000004C84: D86C1440 4F00000A
	v_mul_f32_e32 v112, v49, v112                              // 000000004C8C: 0AE0E131
	v_mul_f32_e32 v113, v49, v113                              // 000000004C90: 0AE2E331
	v_mul_f32_e32 v114, v49, v114                              // 000000004C94: 0AE4E531
	v_mul_f32_e32 v115, v49, v115                              // 000000004C98: 0AE6E731
	v_or_b32_dpp v104, v108, v104 row_shr:8 row_mask:0xf bank_mask:0xf bound_ctrl:1// 000000004C9C: 28D0D0FA FF09186C
	v_or_b32_dpp v105, v109, v105 row_shr:8 row_mask:0xf bank_mask:0xf bound_ctrl:1// 000000004CA4: 28D2D2FA FF09186D
	v_or_b32_dpp v106, v110, v106 row_shr:8 row_mask:0xf bank_mask:0xf bound_ctrl:1// 000000004CAC: 28D4D4FA FF09186E
	v_or_b32_dpp v107, v111, v107 row_shr:8 row_mask:0xf bank_mask:0xf bound_ctrl:1// 000000004CB4: 28D6D6FA FF09186F
	s_waitcnt lgkmcnt(0)                                       // 000000004CBC: BF8CC07F
	v_max3_f32 v48, v64, v65, v48                              // 000000004CC0: D1D30030 04C28340
	v_max3_f32 v48, v66, v67, v48                              // 000000004CC8: D1D30030 04C28742
	v_max3_f32 v48, v68, v69, v48                              // 000000004CD0: D1D30030 04C28B44
	v_max3_f32 v48, v70, v71, v48                              // 000000004CD8: D1D30030 04C28F46
	v_max3_f32 v48, v72, v73, v48                              // 000000004CE0: D1D30030 04C29348
	v_max3_f32 v48, v74, v75, v48                              // 000000004CE8: D1D30030 04C2974A
	v_max3_f32 v48, v76, v77, v48                              // 000000004CF0: D1D30030 04C29B4C
	v_max3_f32 v48, v78, v79, v48                              // 000000004CF8: D1D30030 04C29F4E
	v_cmp_eq_u32_e64 s[40:41], v52, v14                        // 000000004D00: D0CA0028 00021D34
	s_nop 1                                                    // 000000004D08: BF800001
	v_mov_b32_dpp v38, v48 row_ror:8 row_mask:0xf bank_mask:0xf// 000000004D0C: 7E4C02FA FF012830
	v_max_f32_e32 v48, v48, v38                                // 000000004D14: 16604D30
	v_max_f32_e32 v15, v48, v14                                // 000000004D18: 161E1D30
	v_mul_f32_e32 v50, s64, v15                                // 000000004D1C: 0A641E40
	v_fma_f32 v88, v88, s64, -v50                              // 000000004D20: D1CB0058 84C88158
	v_fma_f32 v89, v89, s64, -v50                              // 000000004D28: D1CB0059 84C88159
	v_fma_f32 v90, v90, s64, -v50                              // 000000004D30: D1CB005A 84C8815A
	v_fma_f32 v91, v91, s64, -v50                              // 000000004D38: D1CB005B 84C8815B
	v_fma_f32 v92, v92, s64, -v50                              // 000000004D40: D1CB005C 84C8815C
	v_fma_f32 v93, v93, s64, -v50                              // 000000004D48: D1CB005D 84C8815D
	v_fma_f32 v94, v94, s64, -v50                              // 000000004D50: D1CB005E 84C8815E
	v_fma_f32 v95, v95, s64, -v50                              // 000000004D58: D1CB005F 84C8815F
	v_exp_f32_e32 v88, v88                                     // 000000004D60: 7EB04158
	v_exp_f32_e32 v89, v89                                     // 000000004D64: 7EB24159
	v_exp_f32_e32 v90, v90                                     // 000000004D68: 7EB4415A
	v_exp_f32_e32 v91, v91                                     // 000000004D6C: 7EB6415B
	v_exp_f32_e32 v92, v92                                     // 000000004D70: 7EB8415C
	v_exp_f32_e32 v93, v93                                     // 000000004D74: 7EBA415D
	v_exp_f32_e32 v94, v94                                     // 000000004D78: 7EBC415E
	v_exp_f32_e32 v95, v95                                     // 000000004D7C: 7EBE415F
	v_mul_f32_dpp v116, v126, v88 quad_perm:[0,0,0,0] row_mask:0xf bank_mask:0xf// 000000004D80: 0AE8B0FA FF00007E
	v_mul_f32_dpp v117, v126, v89 quad_perm:[1,1,1,1] row_mask:0xf bank_mask:0xf// 000000004D88: 0AEAB2FA FF00557E
	v_mul_f32_dpp v118, v126, v90 quad_perm:[2,2,2,2] row_mask:0xf bank_mask:0xf// 000000004D90: 0AECB4FA FF00AA7E
	v_mul_f32_dpp v119, v126, v91 quad_perm:[3,3,3,3] row_mask:0xf bank_mask:0xf// 000000004D98: 0AEEB6FA FF00FF7E
	v_mul_f32_dpp v120, v127, v92 quad_perm:[0,0,0,0] row_mask:0xf bank_mask:0xf// 000000004DA0: 0AF0B8FA FF00007F
	v_mul_f32_dpp v121, v127, v93 quad_perm:[1,1,1,1] row_mask:0xf bank_mask:0xf// 000000004DA8: 0AF2BAFA FF00557F
	v_mul_f32_dpp v122, v127, v94 quad_perm:[2,2,2,2] row_mask:0xf bank_mask:0xf// 000000004DB0: 0AF4BCFA FF00AA7F
	v_mul_f32_dpp v123, v127, v95 quad_perm:[3,3,3,3] row_mask:0xf bank_mask:0xf// 000000004DB8: 0AF6BEFA FF00FF7F
	v_mov_b32_e32 v48, 0x358637bd                              // 000000004DC0: 7E6002FF 358637BD
	v_max3_f32 v48, |v116|, |v117|, v48                        // 000000004DC8: D1D30330 04C2EB74
	v_max3_f32 v48, |v118|, |v119|, v48                        // 000000004DD0: D1D30330 04C2EF76
	v_max3_f32 v48, |v120|, |v121|, v48                        // 000000004DD8: D1D30330 04C2F378
	v_max3_f32 v48, |v122|, |v123|, v48                        // 000000004DE0: D1D30330 04C2F77A
	ds_write_b32 v11, v48 offset:5248                          // 000000004DE8: D81A1480 0000300B
	v_sub_f32_e32 v49, v14, v15                                // 000000004DF0: 04621F0E
	v_cndmask_b32_e64 v49, v49, 0, s[40:41]                    // 000000004DF4: D1000031 00A10131
	v_mov_b32_e32 v14, v15                                     // 000000004DFC: 7E1C030F
	v_mul_f32_e32 v49, s64, v49                                // 000000004E00: 0A626240
	v_exp_f32_e32 v49, v49                                     // 000000004E04: 7E624131
	s_waitcnt lgkmcnt(0)                                       // 000000004E08: BF8CC07F
	s_barrier                                                  // 000000004E0C: BF8A0000
	ds_read_b32 v64, v10 offset:5248                           // 000000004E10: D86C1480 4000000A
	ds_read_b32 v65, v10 offset:5312                           // 000000004E18: D86C14C0 4100000A
	ds_read_b32 v66, v10 offset:5376                           // 000000004E20: D86C1500 4200000A
	ds_read_b32 v67, v10 offset:5440                           // 000000004E28: D86C1540 4300000A
	ds_read_b32 v68, v10 offset:5504                           // 000000004E30: D86C1580 4400000A
	ds_read_b32 v69, v10 offset:5568                           // 000000004E38: D86C15C0 4500000A
	ds_read_b32 v70, v10 offset:5632                           // 000000004E40: D86C1600 4600000A
	ds_read_b32 v71, v10 offset:5696                           // 000000004E48: D86C1640 4700000A
	ds_read_b32 v72, v10 offset:5760                           // 000000004E50: D86C1680 4800000A
	ds_read_b32 v73, v10 offset:5824                           // 000000004E58: D86C16C0 4900000A
	ds_read_b32 v74, v10 offset:5888                           // 000000004E60: D86C1700 4A00000A
	ds_read_b32 v75, v10 offset:5952                           // 000000004E68: D86C1740 4B00000A
	ds_read_b32 v76, v10 offset:6016                           // 000000004E70: D86C1780 4C00000A
	ds_read_b32 v77, v10 offset:6080                           // 000000004E78: D86C17C0 4D00000A
	ds_read_b32 v78, v10 offset:6144                           // 000000004E80: D86C1800 4E00000A
	ds_read_b32 v79, v10 offset:6208                           // 000000004E88: D86C1840 4F00000A
	v_mul_f32_e32 v42, v49, v42                                // 000000004E90: 0A545531
	v_mov_b32_e32 v43, v88                                     // 000000004E94: 7E560358
	v_add_f32_e32 v43, v89, v43                                // 000000004E98: 02565759
	v_add_f32_e32 v43, v90, v43                                // 000000004E9C: 0256575A
	v_add_f32_e32 v43, v91, v43                                // 000000004EA0: 0256575B
	v_add_f32_e32 v43, v92, v43                                // 000000004EA4: 0256575C
	v_add_f32_e32 v43, v93, v43                                // 000000004EA8: 0256575D
	v_add_f32_e32 v43, v94, v43                                // 000000004EAC: 0256575E
	v_add_f32_e32 v43, v95, v43                                // 000000004EB0: 0256575F
	v_add_f32_e32 v42, v43, v42                                // 000000004EB4: 0254552B
	s_waitcnt lgkmcnt(0)                                       // 000000004EB8: BF8CC07F
	v_max3_f32 v48, |v64|, |v65|, v48                          // 000000004EBC: D1D30330 04C28340
	v_max3_f32 v48, |v66|, |v67|, v48                          // 000000004EC4: D1D30330 04C28742
	v_max3_f32 v48, |v68|, |v69|, v48                          // 000000004ECC: D1D30330 04C28B44
	v_max3_f32 v48, |v70|, |v71|, v48                          // 000000004ED4: D1D30330 04C28F46
	v_max3_f32 v48, |v72|, |v73|, v48                          // 000000004EDC: D1D30330 04C29348
	v_max3_f32 v48, |v74|, |v75|, v48                          // 000000004EE4: D1D30330 04C2974A
	v_max3_f32 v48, |v76|, |v77|, v48                          // 000000004EEC: D1D30330 04C29B4C
	v_max3_f32 v48, |v78|, |v79|, v48                          // 000000004EF4: D1D30330 04C29F4E
	s_nop 2                                                    // 000000004EFC: BF800002
	v_mov_b32_dpp v38, v48 row_ror:8 row_mask:0xf bank_mask:0xf// 000000004F00: 7E4C02FA FF012830
	v_max_f32_e32 v48, v48, v38                                // 000000004F08: 16604D30
	v_rcp_f32_e32 v48, v48                                     // 000000004F0C: 7E604530
	s_nop 1                                                    // 000000004F10: BF800001
	v_mul_f32_e32 v48, 0x42fe0000, v48                         // 000000004F14: 0A6060FF 42FE0000
	v_mul_f32_e32 v88, v48, v116                               // 000000004F1C: 0AB0E930
	v_mul_f32_e32 v89, v48, v117                               // 000000004F20: 0AB2EB30
	v_mul_f32_e32 v90, v48, v118                               // 000000004F24: 0AB4ED30
	v_mul_f32_e32 v91, v48, v119                               // 000000004F28: 0AB6EF30
	v_mul_f32_e32 v92, v48, v120                               // 000000004F2C: 0AB8F130
	v_mul_f32_e32 v93, v48, v121                               // 000000004F30: 0ABAF330
	v_mul_f32_e32 v94, v48, v122                               // 000000004F34: 0ABCF530
	v_mul_f32_e32 v95, v48, v123                               // 000000004F38: 0ABEF730
	v_cvt_i32_f32_e32 v88, v88                                 // 000000004F3C: 7EB01158
	v_cvt_i32_f32_e32 v89, v89                                 // 000000004F40: 7EB21159
	v_cvt_i32_f32_e32 v90, v90                                 // 000000004F44: 7EB4115A
	v_cvt_i32_f32_e32 v91, v91                                 // 000000004F48: 7EB6115B
	v_cvt_i32_f32_e32 v92, v92                                 // 000000004F4C: 7EB8115C
	v_cvt_i32_f32_e32 v93, v93                                 // 000000004F50: 7EBA115D
	v_cvt_i32_f32_e32 v94, v94                                 // 000000004F54: 7EBC115E
	v_cvt_i32_f32_e32 v95, v95                                 // 000000004F58: 7EBE115F
	v_perm_b32 v88, v89, v88, s53                              // 000000004F5C: D1ED0058 00D6B159
	v_perm_b32 v88, v90, v88, s54                              // 000000004F64: D1ED0058 00DAB15A
	v_perm_b32 v88, v91, v88, s55                              // 000000004F6C: D1ED0058 00DEB15B
	v_perm_b32 v89, v93, v92, s53                              // 000000004F74: D1ED0059 00D6B95D
	v_perm_b32 v89, v94, v89, s54                              // 000000004F7C: D1ED0059 00DAB35E
	v_perm_b32 v89, v95, v89, s55                              // 000000004F84: D1ED0059 00DEB35F
	ds_write_b32 v13, v88 offset:6272                          // 000000004F8C: D81A1880 0000580D
	ds_write_b32 v13, v89 offset:7296                          // 000000004F94: D81A1C80 0000590D
	v_cvt_f32_i32_e32 v104, v104                               // 000000004F9C: 7ED00B68
	v_cvt_f32_i32_e32 v105, v105                               // 000000004FA0: 7ED20B69
	v_cvt_f32_i32_e32 v106, v106                               // 000000004FA4: 7ED40B6A
	v_cvt_f32_i32_e32 v107, v107                               // 000000004FA8: 7ED60B6B
	v_mul_f32_e32 v104, v47, v104                              // 000000004FAC: 0AD0D12F
	v_mul_f32_e32 v105, v47, v105                              // 000000004FB0: 0AD2D32F
	v_mul_f32_e32 v106, v47, v106                              // 000000004FB4: 0AD4D52F
	v_mul_f32_e32 v107, v47, v107                              // 000000004FB8: 0AD6D72F
	v_rcp_f32_e32 v47, v48                                     // 000000004FBC: 7E5E4530
	s_waitcnt lgkmcnt(0)                                       // 000000004FC0: BF8CC07F
	s_barrier                                                  // 000000004FC4: BF8A0000
	ds_read_b64 v[88:89], v12 offset:6272                      // 000000004FC8: D8EC1880 5800000C
	ds_read_b64 v[90:91], v12 offset:6400                      // 000000004FD0: D8EC1900 5A00000C
	ds_read_b64 v[92:93], v12 offset:7296                      // 000000004FD8: D8EC1C80 5C00000C
	ds_read_b64 v[94:95], v12 offset:7424                      // 000000004FE0: D8EC1D00 5E00000C
	v_add_f32_e32 v112, v112, v104                             // 000000004FE8: 02E0D170
	v_add_f32_e32 v113, v113, v105                             // 000000004FEC: 02E2D371
	v_add_f32_e32 v114, v114, v106                             // 000000004FF0: 02E4D572
	v_add_f32_e32 v115, v115, v107                             // 000000004FF4: 02E6D773
	s_waitcnt lgkmcnt(3)                                       // 000000004FF8: BF8CC37F
	v_mov_b32_dpp v96, v88 row_shl:8 row_mask:0xf bank_mask:0xf bound_ctrl:1// 000000004FFC: 7EC002FA FF090858
	v_and_b32_e32 v88, v88, v9                                 // 000000005004: 26B01358
	v_mov_b32_dpp v97, v89 row_shl:8 row_mask:0xf bank_mask:0xf bound_ctrl:1// 000000005008: 7EC202FA FF090859
	v_and_b32_e32 v89, v89, v9                                 // 000000005010: 26B21359
	s_waitcnt lgkmcnt(2)                                       // 000000005014: BF8CC27F
	v_mov_b32_dpp v98, v90 row_shl:8 row_mask:0xf bank_mask:0xf bound_ctrl:1// 000000005018: 7EC402FA FF09085A
	v_and_b32_e32 v90, v90, v9                                 // 000000005020: 26B4135A
	v_mov_b32_dpp v99, v91 row_shl:8 row_mask:0xf bank_mask:0xf bound_ctrl:1// 000000005024: 7EC602FA FF09085B
	v_and_b32_e32 v91, v91, v9                                 // 00000000502C: 26B6135B
	s_waitcnt lgkmcnt(1)                                       // 000000005030: BF8CC17F
	v_mov_b32_dpp v100, v92 row_shl:8 row_mask:0xf bank_mask:0xf bound_ctrl:1// 000000005034: 7EC802FA FF09085C
	v_and_b32_e32 v92, v92, v9                                 // 00000000503C: 26B8135C
	v_mov_b32_dpp v101, v93 row_shl:8 row_mask:0xf bank_mask:0xf bound_ctrl:1// 000000005040: 7ECA02FA FF09085D
	v_and_b32_e32 v93, v93, v9                                 // 000000005048: 26BA135D
	s_waitcnt lgkmcnt(0)                                       // 00000000504C: BF8CC07F
	v_mov_b32_dpp v102, v94 row_shl:8 row_mask:0xf bank_mask:0xf bound_ctrl:1// 000000005050: 7ECC02FA FF09085E
	v_and_b32_e32 v94, v94, v9                                 // 000000005058: 26BC135E
	v_mov_b32_dpp v103, v95 row_shl:8 row_mask:0xf bank_mask:0xf bound_ctrl:1// 00000000505C: 7ECE02FA FF09085F
	v_and_b32_e32 v95, v95, v9                                 // 000000005064: 26BE135F
	s_waitcnt vmcnt(0)                                         // 000000005068: BF8C0F70
	s_barrier                                                  // 00000000506C: BF8A0000
	v_mfma_i32_16x16x32_i8 v[104:107], a[96:97], v[88:89], 0   // 000000005070: D3D70068 0A02B160
	v_mfma_i32_16x16x32_i8 v[104:107], a[98:99], v[90:91], v[104:107]// 000000005078: D3D70068 0DA2B562
	v_mfma_i32_16x16x32_i8 v[104:107], a[100:101], v[92:93], v[104:107]// 000000005080: D3D70068 0DA2B964
	v_mfma_i32_16x16x32_i8 v[104:107], a[102:103], v[94:95], v[104:107]// 000000005088: D3D70068 0DA2BD66
	v_mfma_i32_16x16x32_i8 v[104:107], a[104:105], v[96:97], v[104:107]// 000000005090: D3D70068 0DA2C168
	v_mfma_i32_16x16x32_i8 v[104:107], a[106:107], v[98:99], v[104:107]// 000000005098: D3D70068 0DA2C56A
	v_mfma_i32_16x16x32_i8 v[104:107], a[108:109], v[100:101], v[104:107]// 0000000050A0: D3D70068 0DA2C96C
	v_mfma_i32_16x16x32_i8 v[104:107], a[110:111], v[102:103], v[104:107]// 0000000050A8: D3D70068 0DA2CD6E
	v_mfma_i32_16x16x32_i8 v[108:111], a[112:113], v[88:89], 0 // 0000000050B0: D3D7006C 0A02B170
	v_mfma_i32_16x16x32_i8 v[108:111], a[114:115], v[90:91], v[108:111]// 0000000050B8: D3D7006C 0DB2B572
	v_mfma_i32_16x16x32_i8 v[108:111], a[116:117], v[92:93], v[108:111]// 0000000050C0: D3D7006C 0DB2B974
	v_mfma_i32_16x16x32_i8 v[108:111], a[118:119], v[94:95], v[108:111]// 0000000050C8: D3D7006C 0DB2BD76
	v_mfma_i32_16x16x32_i8 v[108:111], a[120:121], v[96:97], v[108:111]// 0000000050D0: D3D7006C 0DB2C178
	v_mfma_i32_16x16x32_i8 v[108:111], a[122:123], v[98:99], v[108:111]// 0000000050D8: D3D7006C 0DB2C57A
	v_mfma_i32_16x16x32_i8 v[108:111], a[124:125], v[100:101], v[108:111]// 0000000050E0: D3D7006C 0DB2C97C
	v_mfma_i32_16x16x32_i8 v[108:111], a[126:127], v[102:103], v[108:111]// 0000000050E8: D3D7006C 0DB2CD7E
	s_nop 4                                                    // 0000000050F0: BF800004
	s_branch label_0DBE                                        // 0000000050F4: BF820000

00000000000050f8 <label_0DBE>:
	v_mul_f32_e32 v112, v49, v112                              // 0000000050F8: 0AE0E131
	v_mul_f32_e32 v113, v49, v113                              // 0000000050FC: 0AE2E331
	v_mul_f32_e32 v114, v49, v114                              // 000000005100: 0AE4E531
	v_mul_f32_e32 v115, v49, v115                              // 000000005104: 0AE6E731
	v_or_b32_dpp v104, v108, v104 row_shr:8 row_mask:0xf bank_mask:0xf bound_ctrl:1// 000000005108: 28D0D0FA FF09186C
	v_or_b32_dpp v105, v109, v105 row_shr:8 row_mask:0xf bank_mask:0xf bound_ctrl:1// 000000005110: 28D2D2FA FF09186D
	v_or_b32_dpp v106, v110, v106 row_shr:8 row_mask:0xf bank_mask:0xf bound_ctrl:1// 000000005118: 28D4D4FA FF09186E
	v_or_b32_dpp v107, v111, v107 row_shr:8 row_mask:0xf bank_mask:0xf bound_ctrl:1// 000000005120: 28D6D6FA FF09186F
	v_cvt_f32_i32_e32 v104, v104                               // 000000005128: 7ED00B68
	v_cvt_f32_i32_e32 v105, v105                               // 00000000512C: 7ED20B69
	v_cvt_f32_i32_e32 v106, v106                               // 000000005130: 7ED40B6A
	v_cvt_f32_i32_e32 v107, v107                               // 000000005134: 7ED60B6B
	v_mul_f32_e32 v104, v47, v104                              // 000000005138: 0AD0D12F
	v_mul_f32_e32 v105, v47, v105                              // 00000000513C: 0AD2D32F
	v_mul_f32_e32 v106, v47, v106                              // 000000005140: 0AD4D52F
	v_mul_f32_e32 v107, v47, v107                              // 000000005144: 0AD6D72F
	v_add_f32_e32 v112, v112, v104                             // 000000005148: 02E0D170
	v_add_f32_e32 v113, v113, v105                             // 00000000514C: 02E2D371
	v_add_f32_e32 v114, v114, v106                             // 000000005150: 02E4D572
	v_add_f32_e32 v115, v115, v107                             // 000000005154: 02E6D773
	ds_write_b32 v11, v42 offset:4224                          // 000000005158: D81A1080 00002A0B
	s_waitcnt lgkmcnt(0)                                       // 000000005160: BF8CC07F
	s_barrier                                                  // 000000005164: BF8A0000
	ds_read_b32 v64, v10 offset:4224                           // 000000005168: D86C1080 4000000A
	ds_read_b32 v65, v10 offset:4288                           // 000000005170: D86C10C0 4100000A
	ds_read_b32 v66, v10 offset:4352                           // 000000005178: D86C1100 4200000A
	ds_read_b32 v67, v10 offset:4416                           // 000000005180: D86C1140 4300000A
	ds_read_b32 v68, v10 offset:4480                           // 000000005188: D86C1180 4400000A
	ds_read_b32 v69, v10 offset:4544                           // 000000005190: D86C11C0 4500000A
	ds_read_b32 v70, v10 offset:4608                           // 000000005198: D86C1200 4600000A
	ds_read_b32 v71, v10 offset:4672                           // 0000000051A0: D86C1240 4700000A
	ds_read_b32 v72, v10 offset:4736                           // 0000000051A8: D86C1280 4800000A
	ds_read_b32 v73, v10 offset:4800                           // 0000000051B0: D86C12C0 4900000A
	ds_read_b32 v74, v10 offset:4864                           // 0000000051B8: D86C1300 4A00000A
	ds_read_b32 v75, v10 offset:4928                           // 0000000051C0: D86C1340 4B00000A
	ds_read_b32 v76, v10 offset:4992                           // 0000000051C8: D86C1380 4C00000A
	ds_read_b32 v77, v10 offset:5056                           // 0000000051D0: D86C13C0 4D00000A
	ds_read_b32 v78, v10 offset:5120                           // 0000000051D8: D86C1400 4E00000A
	ds_read_b32 v79, v10 offset:5184                           // 0000000051E0: D86C1440 4F00000A
	s_waitcnt lgkmcnt(0)                                       // 0000000051E8: BF8CC07F
	v_mov_b32_e32 v42, 0                                       // 0000000051EC: 7E540280
	v_add_f32_e32 v42, v64, v42                                // 0000000051F0: 02545540
	v_add_f32_e32 v42, v65, v42                                // 0000000051F4: 02545541
	v_add_f32_e32 v42, v66, v42                                // 0000000051F8: 02545542
	v_add_f32_e32 v42, v67, v42                                // 0000000051FC: 02545543
	v_add_f32_e32 v42, v68, v42                                // 000000005200: 02545544
	v_add_f32_e32 v42, v69, v42                                // 000000005204: 02545545
	;; [unrolled: 1-line block ×3, first 2 shown]
	v_add_f32_e32 v42, v71, v42                                // 00000000520C: 02545547
	v_add_f32_e32 v42, v72, v42                                // 000000005210: 02545548
	v_add_f32_e32 v42, v73, v42                                // 000000005214: 02545549
	v_add_f32_e32 v42, v74, v42                                // 000000005218: 0254554A
	v_add_f32_e32 v42, v75, v42                                // 00000000521C: 0254554B
	v_add_f32_e32 v42, v76, v42                                // 000000005220: 0254554C
	v_add_f32_e32 v42, v77, v42                                // 000000005224: 0254554D
	v_add_f32_e32 v42, v78, v42                                // 000000005228: 0254554E
	v_add_f32_e32 v42, v79, v42                                // 00000000522C: 0254554F
	s_nop 1                                                    // 000000005230: BF800001
	v_mov_b32_dpp v38, v42 row_ror:8 row_mask:0xf bank_mask:0xf// 000000005234: 7E4C02FA FF01282A
	v_add_f32_e32 v42, v42, v38                                // 00000000523C: 02544D2A
	v_rcp_f32_e32 v42, v42                                     // 000000005240: 7E54452A
	s_nop 1                                                    // 000000005244: BF800001
	v_mul_f32_e32 v112, v42, v112                              // 000000005248: 0AE0E12A
	v_mul_f32_e32 v113, v42, v113                              // 00000000524C: 0AE2E32A
	v_mul_f32_e32 v114, v42, v114                              // 000000005250: 0AE4E52A
	v_mul_f32_e32 v115, v42, v115                              // 000000005254: 0AE6E72A
	v_cmp_u_f32_e64 s[40:41], v112, v112                       // 000000005258: D0480028 0002E170
	v_add3_u32 v18, v112, v21, 1                               // 000000005260: D1FF0012 02062B70
	v_cndmask_b32_e64 v38, v18, v20, s[40:41]                  // 000000005268: D1000026 00A22912
	v_cmp_u_f32_e64 s[40:41], v113, v113                       // 000000005270: D0480028 0002E371
	v_add3_u32 v18, v113, v21, 1                               // 000000005278: D1FF0012 02062B71
	v_cndmask_b32_e64 v39, v18, v20, s[40:41]                  // 000000005280: D1000027 00A22912
	v_perm_b32 v112, v39, v38, s52                             // 000000005288: D1ED0070 00D24D27
	v_cmp_u_f32_e64 s[40:41], v114, v114                       // 000000005290: D0480028 0002E572
	v_add3_u32 v18, v114, v21, 1                               // 000000005298: D1FF0012 02062B72
	v_cndmask_b32_e64 v38, v18, v20, s[40:41]                  // 0000000052A0: D1000026 00A22912
	v_cmp_u_f32_e64 s[40:41], v115, v115                       // 0000000052A8: D0480028 0002E773
	v_add3_u32 v18, v115, v21, 1                               // 0000000052B0: D1FF0012 02062B73
	v_cndmask_b32_e64 v39, v18, v20, s[40:41]                  // 0000000052B8: D1000027 00A22912
	v_perm_b32 v113, v39, v38, s52                             // 0000000052C0: D1ED0071 00D24D27
	s_nop 1                                                    // 0000000052C8: BF800001
	v_mov_b32_dpp v114, v112 row_shl:8 row_mask:0xf bank_mask:0xf bound_ctrl:1// 0000000052CC: 7EE402FA FF090870
	v_and_b32_e32 v112, v112, v9                               // 0000000052D4: 26E01370
	v_mov_b32_dpp v115, v113 row_shl:8 row_mask:0xf bank_mask:0xf bound_ctrl:1// 0000000052D8: 7EE602FA FF090871
	v_and_b32_e32 v113, v113, v9                               // 0000000052E0: 26E21371
	v_lshrrev_b32_e32 v38, 4, v0                               // 0000000052E4: 204C0084
	v_mul_i32_i24_e32 v5, 34, v38                              // 0000000052E8: 0C0A4CA2
	v_and_b32_e32 v38, 15, v0                                  // 0000000052EC: 264C008F
	v_mul_i32_i24_e32 v39, 2, v38                              // 0000000052F0: 0C4E4C82
	v_add_u32_e32 v5, v39, v5                                  // 0000000052F4: 680A0B27
	s_mul_i32 s60, s7, 0x88                                    // 0000000052F8: 923CFF07 00000088
	v_add_u32_e32 v5, s60, v5                                  // 000000005300: 680A0A3C
	v_lshlrev_b32_e32 v5, 2, v5                                // 000000005304: 240A0A82
	ds_write_b64 v5, v[112:113] offset:10368                   // 000000005308: D89A2880 00007005
	ds_write_b64 v5, v[114:115] offset:12544                   // 000000005310: D89A3100 00007205
	v_lshrrev_b32_e32 v38, 1, v0                               // 000000005318: 204C0081
	v_mul_i32_i24_e32 v5, 34, v38                              // 00000000531C: 0C0A4CA2
	v_and_b32_e32 v39, 1, v0                                   // 000000005320: 264E0081
	v_add_u32_e32 v5, v39, v5                                  // 000000005324: 680A0B27
	s_mul_i32 s60, s7, 2                                       // 000000005328: 923C8207
	v_add_u32_e32 v5, s60, v5                                  // 00000000532C: 680A0A3C
	v_lshlrev_b32_e32 v5, 2, v5                                // 000000005330: 240A0A82
	s_waitcnt lgkmcnt(0)                                       // 000000005334: BF8CC07F
	s_barrier                                                  // 000000005338: BF8A0000
	ds_read_b32 v112, v5 offset:10368                          // 00000000533C: D86C2880 70000005
	ds_read_b32 v113, v5 offset:10400                          // 000000005344: D86C28A0 71000005
	s_waitcnt lgkmcnt(0)                                       // 00000000534C: BF8CC07F
	buffer_store_dword v112, v8, s[8:11], 0 offen              // 000000005350: E0701000 80027008
	buffer_store_dword v113, v8, s[8:11], 0 offen offset:1024  // 000000005358: E0701400 80027108
	s_waitcnt vmcnt(0) expcnt(0) lgkmcnt(0)                    // 000000005360: BF8C0000
	s_endpgm                                                   // 000000005364: BF810000
